;; amdgpu-corpus repo=ROCm/aiter kind=harvested arch=n/a opt=n/a

/root/src/amdgpu-assembly/repos/ROCm__aiter/hsa/gfx950/fmoe_2stages/fmoe_stage1_bf16_pertokenFp8_doweight_g1u1_48x128_2tg_pf2.co:	file format elf64-amdgpu

Disassembly of section .text:

0000000000002a00 <_ZN5aiter57fmoe_stage1_bf16_pertokenFp8_doweight_g1u1_48x128_2tg_pf2E>:
	s_and_b32 s1, s1, 0xffff                                   // 000000002A00: 8601FF01 0000FFFF
	s_load_dwordx2 s[8:9], s[0:1], 0x0                         // 000000002A08: C0060200 00000000
	s_load_dwordx2 s[20:21], s[0:1], 0x10                      // 000000002A10: C0060500 00000010
	s_load_dwordx2 s[24:25], s[0:1], 0x20                      // 000000002A18: C0060600 00000020
	s_load_dwordx2 s[48:49], s[0:1], 0x30                      // 000000002A20: C0060C00 00000030
	s_load_dwordx2 s[28:29], s[0:1], 0x40                      // 000000002A28: C0060700 00000040
	s_load_dwordx2 s[32:33], s[0:1], 0x50                      // 000000002A30: C0060800 00000050
	s_load_dwordx2 s[36:37], s[0:1], 0x60                      // 000000002A38: C0060900 00000060
	s_load_dwordx2 s[12:13], s[0:1], 0x70                      // 000000002A40: C0060300 00000070
	s_load_dwordx2 s[44:45], s[0:1], 0x80                      // 000000002A48: C0060B00 00000080
	s_mov_b32 s89, 0                                           // 000000002A50: BED90080
	s_load_dword s64, s[0:1], 0x90                             // 000000002A54: C0021000 00000090
	s_load_dword s65, s[0:1], 0xa0                             // 000000002A5C: C0021040 000000A0
	s_load_dword s66, s[0:1], 0xb0                             // 000000002A64: C0021080 000000B0
	s_load_dword s67, s[0:1], 0xc0                             // 000000002A6C: C00210C0 000000C0
	s_load_dword s68, s[0:1], 0xd0                             // 000000002A74: C0021100 000000D0
	s_load_dword s69, s[0:1], 0xe0                             // 000000002A7C: C0021140 000000E0
	s_load_dword s71, s[0:1], 0xf0                             // 000000002A84: C00211C0 000000F0
	s_load_dword s72, s[0:1], 0x100                            // 000000002A8C: C0021200 00000100
	s_load_dword s74, s[0:1], 0x110                            // 000000002A94: C0021280 00000110
	s_load_dword s76, s[0:1], 0x120                            // 000000002A9C: C0021300 00000120
	s_load_dword s56, s[0:1], 0x130                            // 000000002AA4: C0020E00 00000130
	s_load_dword s88, s[0:1], 0x140                            // 000000002AAC: C0021600 00000140
	s_load_dword s89, s[0:1], 0x150                            // 000000002AB4: C0021640 00000150
	s_load_dwordx2 s[40:41], s[0:1], 0x160                     // 000000002ABC: C0060A00 00000160
	v_lshrrev_b32_e32 v1, 10, v0                               // 000000002AC4: 2002008A
	v_lshrrev_b32_e32 v2, 10, v1                               // 000000002AC8: 2004028A
	v_and_b32_e32 v2, 0x3ff, v2                                // 000000002ACC: 260404FF 000003FF
	v_and_b32_e32 v1, 0x3ff, v1                                // 000000002AD4: 260202FF 000003FF
	v_and_b32_e32 v0, 0x3ff, v0                                // 000000002ADC: 260000FF 000003FF
	v_lshrrev_b32_e32 v3, 6, v0                                // 000000002AE4: 20060086
	v_and_b32_e32 v0, 63, v0                                   // 000000002AE8: 260000BF
	s_mov_b32 s2, s2                                           // 000000002AEC: BE820002
	s_mov_b32 s3, s3                                           // 000000002AF0: BE830003
	s_mov_b32 s4, s4                                           // 000000002AF4: BE840004
	v_readfirstlane_b32 s7, v3                                 // 000000002AF8: 7E0E0503
	s_waitcnt lgkmcnt(0)                                       // 000000002AFC: BF8CC07F
	s_and_b32 s49, s49, 0xffff                                 // 000000002B00: 8631FF31 0000FFFF
	s_load_dword s48, s[48:49], 0x0                            // 000000002B08: C0020C18 00000000
	s_and_b32 s45, s45, 0xffff                                 // 000000002B10: 862DFF2D 0000FFFF
	s_and_b32 s9, s9, 0xffff                                   // 000000002B18: 8609FF09 0000FFFF
	s_mul_i32 s60, s66, s68                                    // 000000002B20: 923C4442
	s_mul_i32 s61, s66, 4                                      // 000000002B24: 923D8442
	s_mov_b32 s22, s60                                         // 000000002B28: BE96003C
	s_mov_b32 s26, -16                                         // 000000002B2C: BE9A00D0
	s_mov_b32 s30, s61                                         // 000000002B30: BE9E003D
	s_mov_b32 s14, 0xc0                                        // 000000002B34: BE8E00FF 000000C0
	s_mov_b32 s38, -16                                         // 000000002B3C: BEA600D0
	s_mov_b32 s10, -16                                         // 000000002B40: BE8A00D0
	s_mov_b32 s34, 0x200                                       // 000000002B44: BEA200FF 00000200
	s_mov_b32 s23, 0x20000                                     // 000000002B4C: BE9700FF 00020000
	s_mov_b32 s27, 0x20000                                     // 000000002B54: BE9B00FF 00020000
	s_mov_b32 s31, 0x20000                                     // 000000002B5C: BE9F00FF 00020000
	s_mov_b32 s35, 0x20000                                     // 000000002B64: BEA300FF 00020000
	s_mov_b32 s15, 0x20000                                     // 000000002B6C: BE8F00FF 00020000
	s_mov_b32 s39, 0x20000                                     // 000000002B74: BEA700FF 00020000
	s_mov_b32 s11, 0x20000                                     // 000000002B7C: BE8B00FF 00020000
	s_and_b32 s21, s21, 0xffff                                 // 000000002B84: 8615FF15 0000FFFF
	s_and_b32 s25, s25, 0xffff                                 // 000000002B8C: 8619FF19 0000FFFF
	s_and_b32 s29, s29, 0xffff                                 // 000000002B94: 861DFF1D 0000FFFF
	s_and_b32 s33, s33, 0xffff                                 // 000000002B9C: 8621FF21 0000FFFF
	s_and_b32 s13, s13, 0xffff                                 // 000000002BA4: 860DFF0D 0000FFFF
	s_and_b32 s37, s37, 0xffff                                 // 000000002BAC: 8625FF25 0000FFFF
	s_or_b32 s21, s21, 0x40000                                 // 000000002BB4: 8715FF15 00040000
	s_or_b32 s25, s25, 0x40000                                 // 000000002BBC: 8719FF19 00040000
	s_or_b32 s29, s29, 0x40000                                 // 000000002BC4: 871DFF1D 00040000
	s_or_b32 s33, s33, 0x40000                                 // 000000002BCC: 8721FF21 00040000
	s_or_b32 s13, s13, 0x40000                                 // 000000002BD4: 870DFF0D 00040000
	s_or_b32 s37, s37, 0x40000                                 // 000000002BDC: 8725FF25 00040000
	s_mov_b32 s42, -16                                         // 000000002BE4: BEAA00D0
	s_mov_b32 s43, 0x20000                                     // 000000002BE8: BEAB00FF 00020000
	s_and_b32 s41, s41, 0xffff                                 // 000000002BF0: 8629FF29 0000FFFF
	s_or_b32 s41, s41, 0x40000                                 // 000000002BF8: 8729FF29 00040000
	v_accvgpr_write_b32 a79, 0                                 // 000000002C00: D3D9404F 18000080
	v_mov_b32_e32 v98, 0                                       // 000000002C08: 7EC40280
	s_waitcnt lgkmcnt(0)                                       // 000000002C0C: BF8CC07F
	s_mul_i32 s60, s3, 48                                      // 000000002C10: 923CB003
	s_cmp_lt_i32 s60, s48                                      // 000000002C14: BF04303C
	s_cbranch_scc0 label_137F                                  // 000000002C18: BF8412F5
	s_mov_b32 s80, 0                                           // 000000002C1C: BED00080
	s_lshr_b32 s81, s64, s88                                   // 000000002C20: 8F515840
	s_mul_i32 s60, s3, 4                                       // 000000002C24: 923C8403
	s_add_u32 s44, s60, s44                                    // 000000002C28: 802C2C3C
	s_addc_u32 s45, 0, s45                                     // 000000002C2C: 822D2D80
	s_load_dword s5, s[44:45], 0x0                             // 000000002C30: C0020156 00000000
	s_mul_i32 s60, s3, 48                                      // 000000002C38: 923CB003
	s_mul_i32 s60, 4, s60                                      // 000000002C3C: 923C3C84
	s_add_u32 s12, s60, s12                                    // 000000002C40: 800C0C3C
	s_addc_u32 s13, 0, s13                                     // 000000002C44: 820D0D80
	v_and_b32_e32 v4, 15, v0                                   // 000000002C48: 2608008F
	v_lshlrev_b32_e32 v4, 2, v4                                // 000000002C4C: 24080882
	buffer_load_dword v28, v4, s[12:15], 0 offen               // 000000002C50: E0501000 80031C04
	v_add_u32_e32 v4, 64, v4                                   // 000000002C58: 680808C0
	buffer_load_dword v29, v4, s[12:15], 0 offen               // 000000002C5C: E0501000 80031D04
	v_add_u32_e32 v4, 64, v4                                   // 000000002C64: 680808C0
	buffer_load_dword v30, v4, s[12:15], 0 offen               // 000000002C68: E0501000 80031E04
	v_add_u32_e32 v4, 64, v4                                   // 000000002C70: 680808C0
	s_mul_i32 s60, 4, s7                                       // 000000002C74: 923C0784
	v_lshlrev_b32_e32 v4, 4, v0                                // 000000002C78: 24080084
	v_add_u32_e32 v4, s60, v4                                  // 000000002C7C: 6808083C
	buffer_load_dword v3, v4, s[12:15], 0 offen                // 000000002C80: E0501000 80030304
	v_mov_b32_e32 v48, 0                                       // 000000002C88: 7E600280
	v_mov_b32_e32 v72, 0                                       // 000000002C8C: 7E900280
	v_mov_b32_e32 v49, 0                                       // 000000002C90: 7E620280
	v_mov_b32_e32 v73, 0                                       // 000000002C94: 7E920280
	v_mov_b32_e32 v50, 0                                       // 000000002C98: 7E640280
	v_mov_b32_e32 v74, 0                                       // 000000002C9C: 7E940280
	v_mov_b32_e32 v51, 0                                       // 000000002CA0: 7E660280
	v_mov_b32_e32 v75, 0                                       // 000000002CA4: 7E960280
	v_mov_b32_e32 v52, 0                                       // 000000002CA8: 7E680280
	v_mov_b32_e32 v76, 0                                       // 000000002CAC: 7E980280
	v_mov_b32_e32 v53, 0                                       // 000000002CB0: 7E6A0280
	v_mov_b32_e32 v77, 0                                       // 000000002CB4: 7E9A0280
	v_mov_b32_e32 v54, 0                                       // 000000002CB8: 7E6C0280
	v_mov_b32_e32 v78, 0                                       // 000000002CBC: 7E9C0280
	v_mov_b32_e32 v55, 0                                       // 000000002CC0: 7E6E0280
	v_mov_b32_e32 v79, 0                                       // 000000002CC4: 7E9E0280
	v_mov_b32_e32 v56, 0                                       // 000000002CC8: 7E700280
	v_mov_b32_e32 v80, 0                                       // 000000002CCC: 7EA00280
	v_mov_b32_e32 v57, 0                                       // 000000002CD0: 7E720280
	v_mov_b32_e32 v81, 0                                       // 000000002CD4: 7EA20280
	v_mov_b32_e32 v58, 0                                       // 000000002CD8: 7E740280
	v_mov_b32_e32 v82, 0                                       // 000000002CDC: 7EA40280
	v_mov_b32_e32 v59, 0                                       // 000000002CE0: 7E760280
	v_mov_b32_e32 v83, 0                                       // 000000002CE4: 7EA60280
	v_mov_b32_e32 v60, 0                                       // 000000002CE8: 7E780280
	v_mov_b32_e32 v84, 0                                       // 000000002CEC: 7EA80280
	v_mov_b32_e32 v61, 0                                       // 000000002CF0: 7E7A0280
	v_mov_b32_e32 v85, 0                                       // 000000002CF4: 7EAA0280
	v_mov_b32_e32 v62, 0                                       // 000000002CF8: 7E7C0280
	v_mov_b32_e32 v86, 0                                       // 000000002CFC: 7EAC0280
	v_mov_b32_e32 v63, 0                                       // 000000002D00: 7E7E0280
	v_mov_b32_e32 v87, 0                                       // 000000002D04: 7EAE0280
	v_mov_b32_e32 v64, 0                                       // 000000002D08: 7E800280
	v_mov_b32_e32 v88, 0                                       // 000000002D0C: 7EB00280
	v_mov_b32_e32 v65, 0                                       // 000000002D10: 7E820280
	v_mov_b32_e32 v89, 0                                       // 000000002D14: 7EB20280
	v_mov_b32_e32 v66, 0                                       // 000000002D18: 7E840280
	v_mov_b32_e32 v90, 0                                       // 000000002D1C: 7EB40280
	v_mov_b32_e32 v67, 0                                       // 000000002D20: 7E860280
	v_mov_b32_e32 v91, 0                                       // 000000002D24: 7EB60280
	v_mov_b32_e32 v68, 0                                       // 000000002D28: 7E880280
	v_mov_b32_e32 v92, 0                                       // 000000002D2C: 7EB80280
	v_mov_b32_e32 v69, 0                                       // 000000002D30: 7E8A0280
	v_mov_b32_e32 v93, 0                                       // 000000002D34: 7EBA0280
	v_mov_b32_e32 v70, 0                                       // 000000002D38: 7E8C0280
	v_mov_b32_e32 v94, 0                                       // 000000002D3C: 7EBC0280
	v_mov_b32_e32 v71, 0                                       // 000000002D40: 7E8E0280
	v_mov_b32_e32 v95, 0                                       // 000000002D44: 7EBE0280
	s_mul_i32 s60, s2, 0x100                                   // 000000002D48: 923CFF02 00000100
	s_cmp_eq_u32 s88, 0                                        // 000000002D50: BF068058
	s_cselect_b32 s61, 1, 2                                    // 000000002D54: 853D8281
	s_mul_i32 s60, s60, s61                                    // 000000002D58: 923C3D3C
	s_mov_b32 s90, s8                                          // 000000002D5C: BEDA0008
	s_mov_b32 s91, s9                                          // 000000002D60: BEDB0009
	s_add_u32 s8, s60, s8                                      // 000000002D64: 8008083C
	s_addc_u32 s9, 0, s9                                       // 000000002D68: 82090980
	v_lshrrev_b32_e32 v4, 4, v0                                // 000000002D6C: 20080084
	v_mul_lo_u32 v20, 34, v4                                   // 000000002D70: D2850014 000208A2
	v_and_b32_e32 v4, 15, v0                                   // 000000002D78: 2608008F
	v_mul_lo_u32 v5, 2, v4                                     // 000000002D7C: D2850005 00020882
	v_add_u32_e32 v20, v5, v20                                 // 000000002D84: 68282905
	s_mul_i32 s60, s7, 0x88                                    // 000000002D88: 923CFF07 00000088
	v_add_u32_e32 v20, s60, v20                                // 000000002D90: 6828283C
	v_lshlrev_b32_e32 v20, 2, v20                              // 000000002D94: 24282882
	v_and_b32_e32 v4, 31, v0                                   // 000000002D98: 2608009F
	v_lshrrev_b32_e32 v4, 1, v4                                // 000000002D9C: 20080881
	v_mul_lo_u32 v21, 34, v4                                   // 000000002DA0: D2850015 000208A2
	v_lshrrev_b32_e32 v4, 5, v0                                // 000000002DA8: 20080085
	v_mul_lo_u32 v4, 8, v4                                     // 000000002DAC: D2850004 00020888
	v_add_u32_e32 v21, v21, v4                                 // 000000002DB4: 682A0915
	v_and_b32_e32 v5, 1, v0                                    // 000000002DB8: 260A0081
	v_add_u32_e32 v21, v5, v21                                 // 000000002DBC: 682A2B05
	s_mul_i32 s60, s7, 2                                       // 000000002DC0: 923C8207
	v_add_u32_e32 v21, s60, v21                                // 000000002DC4: 682A2A3C
	v_lshlrev_b32_e32 v21, 2, v21                              // 000000002DC8: 242A2A82
	s_mul_i32 s60, s7, 0x620                                   // 000000002DCC: 923CFF07 00000620
	s_add_u32 s48, 0, s60                                      // 000000002DD4: 80303C80
	s_add_u32 s49, 0x1880, s48                                 // 000000002DD8: 803130FF 00001880
	v_lshrrev_b32_e32 v4, 4, v0                                // 000000002DE0: 20080084
	v_lshlrev_b32_e32 v5, 2, v4                                // 000000002DE4: 240A0882
	v_and_b32_e32 v4, 15, v0                                   // 000000002DE8: 2608008F
	v_lshrrev_b32_e32 v6, 2, v4                                // 000000002DEC: 200C0882
	v_lshlrev_b32_e32 v6, 5, v6                                // 000000002DF0: 240C0C85
	v_add_u32_e32 v5, v6, v5                                   // 000000002DF4: 680A0B06
	v_and_b32_e32 v4, 3, v0                                    // 000000002DF8: 26080083
	v_mul_u32_u24_e32 v6, 0x188, v4                            // 000000002DFC: 100C08FF 00000188
	v_add_u32_e32 v5, v6, v5                                   // 000000002E04: 680A0B06
	v_lshlrev_b32_e32 v2, 2, v5                                // 000000002E08: 24040A82
	s_waitcnt lgkmcnt(0)                                       // 000000002E0C: BF8CC07F
	s_mul_i32 s60, s2, 0x80                                    // 000000002E10: 923CFF02 00000080
	s_mul_i32 s60, s60, s69                                    // 000000002E18: 923C453C
	s_mul_i32 s61, s5, s72                                     // 000000002E1C: 923D4805
	s_add_u32 s60, s61, s60                                    // 000000002E20: 803C3C3D
	s_add_u32 s24, s60, s24                                    // 000000002E24: 8018183C
	s_addc_u32 s25, 0, s25                                     // 000000002E28: 82191980
	s_lshr_b32 s60, s64, s88                                   // 000000002E2C: 8F3C5840
	s_mul_i32 s60, s4, s60                                     // 000000002E30: 923C3C04
	s_lshr_b32 s60, s60, 7                                     // 000000002E34: 8F3C873C
	s_mul_i32 s60, s60, 0x800                                  // 000000002E38: 923CFF3C 00000800
	s_add_u32 s24, s60, s24                                    // 000000002E40: 8018183C
	s_addc_u32 s25, 0, s25                                     // 000000002E44: 82191980
	s_lshr_b32 s60, s69, s88                                   // 000000002E48: 8F3C5845
	s_mul_i32 s60, s4, s60                                     // 000000002E4C: 923C3C04
	s_add_u32 s20, s60, s20                                    // 000000002E50: 8014143C
	s_addc_u32 s21, 0, s21                                     // 000000002E54: 82151580
	s_mul_i32 s60, s7, 16                                      // 000000002E58: 923C9007
	s_mul_i32 s60, s60, s69                                    // 000000002E5C: 923C453C
	v_lshlrev_b32_e32 v46, 4, v0                               // 000000002E60: 245C0084
	v_add_u32_e32 v46, s60, v46                                // 000000002E64: 685C5C3C
	s_mul_i32 s60, 64, s69                                     // 000000002E68: 923C45C0
	v_add_u32_e32 v47, s60, v46                                // 000000002E6C: 685E5C3C
	s_mov_b32 s84, s24                                         // 000000002E70: BED40018
	s_mov_b32 s85, s25                                         // 000000002E74: BED50019
	s_mov_b32 s86, s26                                         // 000000002E78: BED6001A
	s_mov_b32 s87, s27                                         // 000000002E7C: BED7001B
	s_mul_i32 s60, s69, s65                                    // 000000002E80: 923C4145
	s_add_u32 s84, s60, s84                                    // 000000002E84: 8054543C
	s_addc_u32 s85, 0, s85                                     // 000000002E88: 82555580
	v_lshrrev_b32_e32 v4, 4, v0                                // 000000002E8C: 20080084
	v_lshlrev_b32_e32 v5, 2, v4                                // 000000002E90: 240A0882
	v_and_b32_e32 v4, 15, v0                                   // 000000002E94: 2608008F
	v_lshrrev_b32_e32 v6, 2, v4                                // 000000002E98: 200C0882
	v_lshlrev_b32_e32 v6, 6, v6                                // 000000002E9C: 240C0C86
	v_add_u32_e32 v5, v6, v5                                   // 000000002EA0: 680A0B06
	v_and_b32_e32 v4, 3, v0                                    // 000000002EA4: 26080083
	v_add_u32_e32 v5, v4, v5                                   // 000000002EA8: 680A0B04
	v_lshlrev_b32_e32 v22, 2, v5                               // 000000002EAC: 242C0A82
	s_mul_i32 s60, s7, 16                                      // 000000002EB0: 923C9007
	s_mul_i32 s60, s60, 4                                      // 000000002EB4: 923C843C
	v_add_u32_e32 v22, s60, v22                                // 000000002EB8: 682C2C3C
	s_mul_i32 s60, s2, 0x80                                    // 000000002EBC: 923CFF02 00000080
	s_mul_i32 s60, s60, 4                                      // 000000002EC4: 923C843C
	s_mul_i32 s61, s5, s74                                     // 000000002EC8: 923D4A05
	s_add_u32 s61, s61, s60                                    // 000000002ECC: 803D3C3D
	s_add_u32 s32, s61, s32                                    // 000000002ED0: 8020203D
	s_addc_u32 s33, 0, s33                                     // 000000002ED4: 82212180
	s_mov_b32 s57, 0x80                                        // 000000002ED8: BEB900FF 00000080
	s_mov_b32 s58, 0x800                                       // 000000002EE0: BEBA00FF 00000800
	s_mov_b32 s83, s58                                         // 000000002EE8: BED3003A
	s_mov_b32 s52, 0x7060302                                   // 000000002EEC: BEB400FF 07060302
	s_mov_b32 s53, 0x400                                       // 000000002EF4: BEB500FF 00000400
	s_mov_b32 s54, 0x40100                                     // 000000002EFC: BEB600FF 00040100
	s_mov_b32 s55, 0x4020100                                   // 000000002F04: BEB700FF 04020100
	s_mov_b32 s6, 0x3fb8aa3b                                   // 000000002F0C: BE8600FF 3FB8AA3B
	s_mov_b32 s78, 0xbd92220c                                  // 000000002F14: BECE00FF BD92220C
	s_mov_b32 s79, 0xbd92220c                                  // 000000002F1C: BECF00FF BD92220C
	s_mov_b32 m0, s48                                          // 000000002F24: BEFC0030
	v_mov_b32_e32 v1, 0xbfcc4231                               // 000000002F28: 7E0202FF BFCC4231
	v_mov_b32_e32 v17, 0xffff0000                              // 000000002F30: 7E2202FF FFFF0000
	v_mov_b32_e32 v18, 0x7fff0000                              // 000000002F38: 7E2402FF 7FFF0000
	v_mov_b32_e32 v19, 0x7fff                                  // 000000002F40: 7E2602FF 00007FFF
	s_waitcnt vmcnt(0) expcnt(0) lgkmcnt(0)                    // 000000002F48: BF8C0000
	s_mul_i32 s60, s3, 48                                      // 000000002F4C: 923CB003
	s_mul_i32 s60, 4, s60                                      // 000000002F50: 923C3C84
	s_add_u32 s40, s60, s40                                    // 000000002F54: 8028283C
	s_addc_u32 s41, 0, s41                                     // 000000002F58: 82292980
	v_and_b32_e32 v4, 15, v0                                   // 000000002F5C: 2608008F
	v_lshlrev_b32_e32 v4, 2, v4                                // 000000002F60: 24080882
	buffer_load_dword v96, v4, s[40:43], 0 offen               // 000000002F64: E0501000 800A6004
	buffer_load_dword v97, v4, s[40:43], 0 offen offset:64     // 000000002F6C: E0501040 800A6104
	buffer_load_dword v98, v4, s[40:43], 0 offen offset:128    // 000000002F74: E0501080 800A6204
	v_lshrrev_b32_e32 v4, 5, v0                                // 000000002F7C: 20080085
	v_xor_b32_e32 v5, 1, v4                                    // 000000002F80: 2A0A0881
	v_readlane_b32 s82, v3, 0                                  // 000000002F84: D2890052 00010103
	s_and_b32 s82, s82, 0xffffff                               // 000000002F8C: 8652FF52 00FFFFFF
	v_mul_lo_u32 v6, v5, s82                                   // 000000002F94: D2850006 0000A505
	v_readlane_b32 s82, v3, 1                                  // 000000002F9C: D2890052 00010303
	s_and_b32 s82, s82, 0xffffff                               // 000000002FA4: 8652FF52 00FFFFFF
	v_mul_lo_u32 v7, v4, s82                                   // 000000002FAC: D2850007 0000A504
	v_add_u32_e32 v40, v6, v7                                  // 000000002FB4: 68500F06
	v_mul_lo_u32 v40, v40, s68                                 // 000000002FB8: D2850028 00008928
	v_readlane_b32 s82, v3, 2                                  // 000000002FC0: D2890052 00010503
	s_and_b32 s82, s82, 0xffffff                               // 000000002FC8: 8652FF52 00FFFFFF
	v_mul_lo_u32 v6, v5, s82                                   // 000000002FD0: D2850006 0000A505
	v_readlane_b32 s82, v3, 3                                  // 000000002FD8: D2890052 00010703
	s_and_b32 s82, s82, 0xffffff                               // 000000002FE0: 8652FF52 00FFFFFF
	v_mul_lo_u32 v7, v4, s82                                   // 000000002FE8: D2850007 0000A504
	v_add_u32_e32 v41, v6, v7                                  // 000000002FF0: 68520F06
	v_mul_lo_u32 v41, v41, s68                                 // 000000002FF4: D2850029 00008929
	v_readlane_b32 s82, v3, 4                                  // 000000002FFC: D2890052 00010903
	s_and_b32 s82, s82, 0xffffff                               // 000000003004: 8652FF52 00FFFFFF
	v_mul_lo_u32 v6, v5, s82                                   // 00000000300C: D2850006 0000A505
	v_readlane_b32 s82, v3, 5                                  // 000000003014: D2890052 00010B03
	s_and_b32 s82, s82, 0xffffff                               // 00000000301C: 8652FF52 00FFFFFF
	v_mul_lo_u32 v7, v4, s82                                   // 000000003024: D2850007 0000A504
	v_add_u32_e32 v42, v6, v7                                  // 00000000302C: 68540F06
	v_mul_lo_u32 v42, v42, s68                                 // 000000003030: D285002A 0000892A
	v_readlane_b32 s82, v3, 6                                  // 000000003038: D2890052 00010D03
	s_and_b32 s82, s82, 0xffffff                               // 000000003040: 8652FF52 00FFFFFF
	v_mul_lo_u32 v6, v5, s82                                   // 000000003048: D2850006 0000A505
	v_readlane_b32 s82, v3, 7                                  // 000000003050: D2890052 00010F03
	s_and_b32 s82, s82, 0xffffff                               // 000000003058: 8652FF52 00FFFFFF
	v_mul_lo_u32 v7, v4, s82                                   // 000000003060: D2850007 0000A504
	v_add_u32_e32 v43, v6, v7                                  // 000000003068: 68560F06
	v_mul_lo_u32 v43, v43, s68                                 // 00000000306C: D285002B 0000892B
	v_readlane_b32 s82, v3, 8                                  // 000000003074: D2890052 00011103
	s_and_b32 s82, s82, 0xffffff                               // 00000000307C: 8652FF52 00FFFFFF
	v_mul_lo_u32 v6, v5, s82                                   // 000000003084: D2850006 0000A505
	v_readlane_b32 s82, v3, 9                                  // 00000000308C: D2890052 00011303
	s_and_b32 s82, s82, 0xffffff                               // 000000003094: 8652FF52 00FFFFFF
	v_mul_lo_u32 v7, v4, s82                                   // 00000000309C: D2850007 0000A504
	v_add_u32_e32 v44, v6, v7                                  // 0000000030A4: 68580F06
	v_mul_lo_u32 v44, v44, s68                                 // 0000000030A8: D285002C 0000892C
	v_readlane_b32 s82, v3, 10                                 // 0000000030B0: D2890052 00011503
	s_and_b32 s82, s82, 0xffffff                               // 0000000030B8: 8652FF52 00FFFFFF
	v_mul_lo_u32 v6, v5, s82                                   // 0000000030C0: D2850006 0000A505
	v_readlane_b32 s82, v3, 11                                 // 0000000030C8: D2890052 00011703
	s_and_b32 s82, s82, 0xffffff                               // 0000000030D0: 8652FF52 00FFFFFF
	v_mul_lo_u32 v7, v4, s82                                   // 0000000030D8: D2850007 0000A504
	v_add_u32_e32 v45, v6, v7                                  // 0000000030E0: 685A0F06
	v_mul_lo_u32 v45, v45, s68                                 // 0000000030E4: D285002D 0000892D
	v_and_b32_e32 v4, 31, v0                                   // 0000000030EC: 2608009F
	v_lshlrev_b32_e32 v4, 2, v4                                // 0000000030F0: 24080882
	v_add_u32_e32 v40, v40, v4                                 // 0000000030F4: 68500928
	v_add_u32_e32 v41, v41, v4                                 // 0000000030F8: 68520929
	v_add_u32_e32 v42, v42, v4                                 // 0000000030FC: 6854092A
	v_add_u32_e32 v43, v43, v4                                 // 000000003100: 6856092B
	v_add_u32_e32 v44, v44, v4                                 // 000000003104: 6858092C
	v_add_u32_e32 v45, v45, v4                                 // 000000003108: 685A092D
	v_and_b32_e32 v28, 0xffffff, v28                           // 00000000310C: 263838FF 00FFFFFF
	v_lshlrev_b32_e32 v28, 2, v28                              // 000000003114: 24383882
	v_and_b32_e32 v29, 0xffffff, v29                           // 000000003118: 263A3AFF 00FFFFFF
	v_lshlrev_b32_e32 v29, 2, v29                              // 000000003120: 243A3A82
	v_and_b32_e32 v30, 0xffffff, v30                           // 000000003124: 263C3CFF 00FFFFFF
	v_lshlrev_b32_e32 v30, 2, v30                              // 00000000312C: 243C3C82
	s_lshl_b32 s3, s66, 2                                      // 000000003130: 8E038242
	buffer_load_dword v31, v28, s[28:31], 0 offen              // 000000003134: E0501000 80071F1C
	buffer_load_dword v32, v29, s[28:31], 0 offen              // 00000000313C: E0501000 8007201D
	buffer_load_dword v33, v30, s[28:31], 0 offen              // 000000003144: E0501000 8007211E
	buffer_load_dword v24, v22, s[32:35], 0 offen              // 00000000314C: E0501000 80081816
	s_mul_i32 s60, 4, s65                                      // 000000003154: 923C4184
	s_add_u32 s32, s60, s32                                    // 000000003158: 8020203C
	s_addc_u32 s33, 0, s33                                     // 00000000315C: 82212180
	buffer_load_dword v26, v22, s[32:35], 0 offen              // 000000003160: E0501000 80081A16
	buffer_load_dword v40, s[20:23], 0 offen lds               // 000000003168: E0511000 80050028
	s_add_u32 m0, 0x100, s48                                   // 000000003170: 807C30FF 00000100
	buffer_load_dword v41, s[20:23], 0 offen lds               // 000000003178: E0511000 80050029
	s_add_u32 m0, 0x200, s48                                   // 000000003180: 807C30FF 00000200
	buffer_load_dword v42, s[20:23], 0 offen lds               // 000000003188: E0511000 8005002A
	s_add_u32 m0, 0x300, s48                                   // 000000003190: 807C30FF 00000300
	buffer_load_dword v43, s[20:23], 0 offen lds               // 000000003198: E0511000 8005002B
	s_add_u32 m0, 0x400, s48                                   // 0000000031A0: 807C30FF 00000400
	buffer_load_dword v44, s[20:23], 0 offen lds               // 0000000031A8: E0511000 8005002C
	s_add_u32 m0, 0x500, s48                                   // 0000000031B0: 807C30FF 00000500
	buffer_load_dword v45, s[20:23], 0 offen lds               // 0000000031B8: E0511000 8005002D
	s_add_u32 m0, 0, s49                                       // 0000000031C0: 807C3180
	s_add_u32 s20, s57, s20                                    // 0000000031C4: 80141439
	s_addc_u32 s21, 0, s21                                     // 0000000031C8: 82151580
	buffer_load_dword v40, s[20:23], 0 offen lds               // 0000000031CC: E0511000 80050028
	s_add_u32 m0, 0x100, s49                                   // 0000000031D4: 807C31FF 00000100
	buffer_load_dword v41, s[20:23], 0 offen lds               // 0000000031DC: E0511000 80050029
	s_add_u32 m0, 0x200, s49                                   // 0000000031E4: 807C31FF 00000200
	buffer_load_dword v42, s[20:23], 0 offen lds               // 0000000031EC: E0511000 8005002A
	s_add_u32 m0, 0x300, s49                                   // 0000000031F4: 807C31FF 00000300
	buffer_load_dword v43, s[20:23], 0 offen lds               // 0000000031FC: E0511000 8005002B
	s_add_u32 m0, 0x400, s49                                   // 000000003204: 807C31FF 00000400
	buffer_load_dword v44, s[20:23], 0 offen lds               // 00000000320C: E0511000 8005002C
	s_add_u32 m0, 0x500, s49                                   // 000000003214: 807C31FF 00000500
	buffer_load_dword v45, s[20:23], 0 offen lds               // 00000000321C: E0511000 8005002D
	s_add_u32 m0, 0, s48                                       // 000000003224: 807C3080
	s_add_u32 s20, s57, s20                                    // 000000003228: 80141439
	s_addc_u32 s21, 0, s21                                     // 00000000322C: 82151580
	buffer_load_dwordx4 a[48:51], v46, s[24:27], 0 offen       // 000000003230: E05C1000 8086302E
	buffer_load_dwordx4 a[52:55], v46, s[24:27], 0 offen offset:1024// 000000003238: E05C1400 8086342E
	buffer_load_dwordx4 a[56:59], v47, s[24:27], 0 offen       // 000000003240: E05C1000 8086382F
	buffer_load_dwordx4 a[60:63], v47, s[24:27], 0 offen offset:1024// 000000003248: E05C1400 80863C2F
	s_add_u32 s24, s58, s24                                    // 000000003250: 8018183A
	s_addc_u32 s25, 0, s25                                     // 000000003254: 82191980
	s_waitcnt vmcnt(10)                                        // 000000003258: BF8C0F7A
	s_barrier                                                  // 00000000325C: BF8A0000
	ds_read_b128 a[0:3], v2                                    // 000000003260: DBFE0000 00000002
	ds_read_b128 a[4:7], v2 offset:64                          // 000000003268: DBFE0040 04000002
	ds_read_b128 a[8:11], v2 offset:512                        // 000000003270: DBFE0200 08000002
	ds_read_b128 a[12:15], v2 offset:576                       // 000000003278: DBFE0240 0C000002
	ds_read_b128 a[16:19], v2 offset:1024                      // 000000003280: DBFE0400 10000002
	ds_read_b128 a[20:23], v2 offset:1088                      // 000000003288: DBFE0440 14000002
	s_cmp_lt_i32 s7, 2                                         // 000000003290: BF048207
	s_cbranch_scc0 label_0AD4                                  // 000000003294: BF8408AB

0000000000003298 <label_0226>:
	s_waitcnt vmcnt(2) lgkmcnt(0)                              // 000000003298: BF8C0072
	s_barrier                                                  // 00000000329C: BF8A0000
	v_mfma_f32_16x16x32_fp8_fp8 v[48:51], a[48:49], a[0:1], v[48:51]// 0000000032A0: D3F30030 1CC20130
	v_mfma_f32_16x16x32_fp8_fp8 v[48:51], a[50:51], a[2:3], v[48:51]// 0000000032A8: D3F30030 1CC20532
	buffer_load_dwordx4 a[64:67], v46, s[84:87], 0 offen       // 0000000032B0: E05C1000 8095402E
	v_mfma_f32_16x16x32_fp8_fp8 v[48:51], a[52:53], a[4:5], v[48:51]// 0000000032B8: D3F30030 1CC20934
	v_mfma_f32_16x16x32_fp8_fp8 v[48:51], a[54:55], a[6:7], v[48:51]// 0000000032C0: D3F30030 1CC20D36
	v_mfma_f32_16x16x32_fp8_fp8 v[52:55], a[48:49], a[8:9], v[52:55]// 0000000032C8: D3F30034 1CD21130
	v_mfma_f32_16x16x32_fp8_fp8 v[52:55], a[50:51], a[10:11], v[52:55]// 0000000032D0: D3F30034 1CD21532
	buffer_load_dwordx4 a[68:71], v46, s[84:87], 0 offen offset:1024// 0000000032D8: E05C1400 8095442E
	v_mfma_f32_16x16x32_fp8_fp8 v[52:55], a[52:53], a[12:13], v[52:55]// 0000000032E0: D3F30034 1CD21934
	v_mfma_f32_16x16x32_fp8_fp8 v[52:55], a[54:55], a[14:15], v[52:55]// 0000000032E8: D3F30034 1CD21D36
	v_mfma_f32_16x16x32_fp8_fp8 v[56:59], a[48:49], a[16:17], v[56:59]// 0000000032F0: D3F30038 1CE22130
	v_mfma_f32_16x16x32_fp8_fp8 v[56:59], a[50:51], a[18:19], v[56:59]// 0000000032F8: D3F30038 1CE22532
	buffer_load_dwordx4 a[72:75], v47, s[84:87], 0 offen       // 000000003300: E05C1000 8095482F
	v_mfma_f32_16x16x32_fp8_fp8 v[56:59], a[52:53], a[20:21], v[56:59]// 000000003308: D3F30038 1CE22934
	v_mfma_f32_16x16x32_fp8_fp8 v[56:59], a[54:55], a[22:23], v[56:59]// 000000003310: D3F30038 1CE22D36
	s_waitcnt vmcnt(3)                                         // 000000003318: BF8C0F73
	v_mfma_f32_16x16x32_fp8_fp8 v[60:63], a[56:57], a[0:1], v[60:63]// 00000000331C: D3F3003C 1CF20138
	v_mfma_f32_16x16x32_fp8_fp8 v[60:63], a[58:59], a[2:3], v[60:63]// 000000003324: D3F3003C 1CF2053A
	buffer_load_dwordx4 a[76:79], v47, s[84:87], 0 offen offset:1024// 00000000332C: E05C1400 80954C2F
	buffer_load_dword v40, s[20:23], 0 offen lds               // 000000003334: E0511000 80050028
	s_add_u32 m0, 0x100, s48                                   // 00000000333C: 807C30FF 00000100
	v_mfma_f32_16x16x32_fp8_fp8 v[60:63], a[60:61], a[4:5], v[60:63]// 000000003344: D3F3003C 1CF2093C
	v_mfma_f32_16x16x32_fp8_fp8 v[60:63], a[62:63], a[6:7], v[60:63]// 00000000334C: D3F3003C 1CF20D3E
	buffer_load_dword v41, s[20:23], 0 offen lds               // 000000003354: E0511000 80050029
	s_add_u32 m0, 0x200, s48                                   // 00000000335C: 807C30FF 00000200
	v_mfma_f32_16x16x32_fp8_fp8 v[64:67], a[56:57], a[8:9], v[64:67]// 000000003364: D3F30040 1D021138
	v_mfma_f32_16x16x32_fp8_fp8 v[64:67], a[58:59], a[10:11], v[64:67]// 00000000336C: D3F30040 1D02153A
	buffer_load_dword v42, s[20:23], 0 offen lds               // 000000003374: E0511000 8005002A
	s_add_u32 m0, 0x300, s48                                   // 00000000337C: 807C30FF 00000300
	v_mfma_f32_16x16x32_fp8_fp8 v[64:67], a[60:61], a[12:13], v[64:67]// 000000003384: D3F30040 1D02193C
	v_mfma_f32_16x16x32_fp8_fp8 v[64:67], a[62:63], a[14:15], v[64:67]// 00000000338C: D3F30040 1D021D3E
	buffer_load_dword v43, s[20:23], 0 offen lds               // 000000003394: E0511000 8005002B
	s_add_u32 m0, 0x400, s48                                   // 00000000339C: 807C30FF 00000400
	v_mfma_f32_16x16x32_fp8_fp8 v[68:71], a[56:57], a[16:17], v[68:71]// 0000000033A4: D3F30044 1D122138
	v_mfma_f32_16x16x32_fp8_fp8 v[68:71], a[58:59], a[18:19], v[68:71]// 0000000033AC: D3F30044 1D12253A
	buffer_load_dword v44, s[20:23], 0 offen lds               // 0000000033B4: E0511000 8005002C
	s_add_u32 m0, 0x500, s48                                   // 0000000033BC: 807C30FF 00000500
	s_add_u32 s60, 0x80, s80                                   // 0000000033C4: 803C50FF 00000080
	s_cmp_lt_u32 s60, s81                                      // 0000000033CC: BF0A513C
	s_cselect_b32 s83, s83, 0                                  // 0000000033D0: 85538053
	v_mfma_f32_16x16x32_fp8_fp8 v[68:71], a[60:61], a[20:21], v[68:71]// 0000000033D4: D3F30044 1D12293C
	v_mfma_f32_16x16x32_fp8_fp8 v[68:71], a[62:63], a[22:23], v[68:71]// 0000000033DC: D3F30044 1D122D3E
	buffer_load_dword v45, s[20:23], 0 offen lds               // 0000000033E4: E0511000 8005002D
	s_add_u32 m0, 0, s49                                       // 0000000033EC: 807C3180
	s_waitcnt vmcnt(6)                                         // 0000000033F0: BF8C0F76
	v_mfma_f32_16x16x32_fp8_fp8 v[72:75], a[64:65], a[0:1], v[72:75]// 0000000033F4: D3F30048 1D220140
	v_mfma_f32_16x16x32_fp8_fp8 v[72:75], a[66:67], a[2:3], v[72:75]// 0000000033FC: D3F30048 1D220542
	buffer_load_dwordx4 a[48:51], v46, s[24:27], 0 offen       // 000000003404: E05C1000 8086302E
	v_mfma_f32_16x16x32_fp8_fp8 v[72:75], a[68:69], a[4:5], v[72:75]// 00000000340C: D3F30048 1D220944
	v_mfma_f32_16x16x32_fp8_fp8 v[72:75], a[70:71], a[6:7], v[72:75]// 000000003414: D3F30048 1D220D46
	ds_read_b128 a[24:27], v2 offset:6272                      // 00000000341C: DBFE1880 18000002
	ds_read_b128 a[28:31], v2 offset:6336                      // 000000003424: DBFE18C0 1C000002
	v_mfma_f32_16x16x32_fp8_fp8 v[84:87], a[72:73], a[0:1], v[84:87]// 00000000342C: D3F30054 1D520148
	v_mfma_f32_16x16x32_fp8_fp8 v[84:87], a[74:75], a[2:3], v[84:87]// 000000003434: D3F30054 1D52054A
	buffer_load_dwordx4 a[52:55], v46, s[24:27], 0 offen offset:1024// 00000000343C: E05C1400 8086342E
	v_mfma_f32_16x16x32_fp8_fp8 v[84:87], a[76:77], a[4:5], v[84:87]// 000000003444: D3F30054 1D52094C
	v_mfma_f32_16x16x32_fp8_fp8 v[84:87], a[78:79], a[6:7], v[84:87]// 00000000344C: D3F30054 1D520D4E
	ds_read_b128 a[32:35], v2 offset:6784                      // 000000003454: DBFE1A80 20000002
	ds_read_b128 a[36:39], v2 offset:6848                      // 00000000345C: DBFE1AC0 24000002
	v_mfma_f32_16x16x32_fp8_fp8 v[76:79], a[64:65], a[8:9], v[76:79]// 000000003464: D3F3004C 1D321140
	v_mfma_f32_16x16x32_fp8_fp8 v[76:79], a[66:67], a[10:11], v[76:79]// 00000000346C: D3F3004C 1D321542
	buffer_load_dwordx4 a[56:59], v47, s[24:27], 0 offen       // 000000003474: E05C1000 8086382F
	v_mfma_f32_16x16x32_fp8_fp8 v[76:79], a[68:69], a[12:13], v[76:79]// 00000000347C: D3F3004C 1D321944
	v_mfma_f32_16x16x32_fp8_fp8 v[76:79], a[70:71], a[14:15], v[76:79]// 000000003484: D3F3004C 1D321D46
	ds_read_b128 a[40:43], v2 offset:7296                      // 00000000348C: DBFE1C80 28000002
	ds_read_b128 a[44:47], v2 offset:7360                      // 000000003494: DBFE1CC0 2C000002
	v_mfma_f32_16x16x32_fp8_fp8 v[88:91], a[72:73], a[8:9], v[88:91]// 00000000349C: D3F30058 1D621148
	v_mfma_f32_16x16x32_fp8_fp8 v[88:91], a[74:75], a[10:11], v[88:91]// 0000000034A4: D3F30058 1D62154A
	buffer_load_dwordx4 a[60:63], v47, s[24:27], 0 offen offset:1024// 0000000034AC: E05C1400 80863C2F
	v_mfma_f32_16x16x32_fp8_fp8 v[88:91], a[76:77], a[12:13], v[88:91]// 0000000034B4: D3F30058 1D62194C
	v_mfma_f32_16x16x32_fp8_fp8 v[88:91], a[78:79], a[14:15], v[88:91]// 0000000034BC: D3F30058 1D621D4E
	v_mfma_f32_16x16x32_fp8_fp8 v[80:83], a[64:65], a[16:17], v[80:83]// 0000000034C4: D3F30050 1D422140
	v_mfma_f32_16x16x32_fp8_fp8 v[80:83], a[66:67], a[18:19], v[80:83]// 0000000034CC: D3F30050 1D422542
	v_mfma_f32_16x16x32_fp8_fp8 v[80:83], a[68:69], a[20:21], v[80:83]// 0000000034D4: D3F30050 1D422944
	s_add_u32 s60, 0x180, s80                                  // 0000000034DC: 803C50FF 00000180
	s_cmp_lt_u32 s60, s81                                      // 0000000034E4: BF0A513C
	s_cselect_b32 s57, s57, 0                                  // 0000000034E8: 85398039
	v_mfma_f32_16x16x32_fp8_fp8 v[80:83], a[70:71], a[22:23], v[80:83]// 0000000034EC: D3F30050 1D422D46
	s_add_u32 s60, 0x100, s80                                  // 0000000034F4: 803C50FF 00000100
	s_cmp_lt_u32 s60, s81                                      // 0000000034FC: BF0A513C
	s_cselect_b32 s58, s58, 0                                  // 000000003500: 853A803A
	v_mfma_f32_16x16x32_fp8_fp8 v[92:95], a[72:73], a[16:17], v[92:95]// 000000003504: D3F3005C 1D722148
	s_add_u32 s24, s58, s24                                    // 00000000350C: 8018183A
	s_addc_u32 s25, 0, s25                                     // 000000003510: 82191980
	v_mfma_f32_16x16x32_fp8_fp8 v[92:95], a[74:75], a[18:19], v[92:95]// 000000003514: D3F3005C 1D72254A
	s_add_u32 s20, s57, s20                                    // 00000000351C: 80141439
	s_addc_u32 s21, 0, s21                                     // 000000003520: 82151580
	v_mfma_f32_16x16x32_fp8_fp8 v[92:95], a[76:77], a[20:21], v[92:95]// 000000003524: D3F3005C 1D72294C
	s_add_u32 s84, s83, s84                                    // 00000000352C: 80545453
	s_addc_u32 s85, 0, s85                                     // 000000003530: 82555580
	v_mfma_f32_16x16x32_fp8_fp8 v[92:95], a[78:79], a[22:23], v[92:95]// 000000003534: D3F3005C 1D722D4E
	s_addk_i32 s80, 0x80                                       // 00000000353C: B7500080
	s_cmp_lt_i32 s80, s81                                      // 000000003540: BF045150
	s_cbranch_scc0 label_037F                                  // 000000003544: BF8400AD
	s_waitcnt vmcnt(2) lgkmcnt(0)                              // 000000003548: BF8C0072
	s_barrier                                                  // 00000000354C: BF8A0000
	v_mfma_f32_16x16x32_fp8_fp8 v[48:51], a[48:49], a[24:25], v[48:51]// 000000003550: D3F30030 1CC23130
	v_mfma_f32_16x16x32_fp8_fp8 v[48:51], a[50:51], a[26:27], v[48:51]// 000000003558: D3F30030 1CC23532
	buffer_load_dwordx4 a[64:67], v46, s[84:87], 0 offen       // 000000003560: E05C1000 8095402E
	v_mfma_f32_16x16x32_fp8_fp8 v[48:51], a[52:53], a[28:29], v[48:51]// 000000003568: D3F30030 1CC23934
	v_mfma_f32_16x16x32_fp8_fp8 v[48:51], a[54:55], a[30:31], v[48:51]// 000000003570: D3F30030 1CC23D36
	v_mfma_f32_16x16x32_fp8_fp8 v[52:55], a[48:49], a[32:33], v[52:55]// 000000003578: D3F30034 1CD24130
	v_mfma_f32_16x16x32_fp8_fp8 v[52:55], a[50:51], a[34:35], v[52:55]// 000000003580: D3F30034 1CD24532
	buffer_load_dwordx4 a[68:71], v46, s[84:87], 0 offen offset:1024// 000000003588: E05C1400 8095442E
	v_mfma_f32_16x16x32_fp8_fp8 v[52:55], a[52:53], a[36:37], v[52:55]// 000000003590: D3F30034 1CD24934
	v_mfma_f32_16x16x32_fp8_fp8 v[52:55], a[54:55], a[38:39], v[52:55]// 000000003598: D3F30034 1CD24D36
	v_mfma_f32_16x16x32_fp8_fp8 v[56:59], a[48:49], a[40:41], v[56:59]// 0000000035A0: D3F30038 1CE25130
	v_mfma_f32_16x16x32_fp8_fp8 v[56:59], a[50:51], a[42:43], v[56:59]// 0000000035A8: D3F30038 1CE25532
	buffer_load_dwordx4 a[72:75], v47, s[84:87], 0 offen       // 0000000035B0: E05C1000 8095482F
	v_mfma_f32_16x16x32_fp8_fp8 v[56:59], a[52:53], a[44:45], v[56:59]// 0000000035B8: D3F30038 1CE25934
	v_mfma_f32_16x16x32_fp8_fp8 v[56:59], a[54:55], a[46:47], v[56:59]// 0000000035C0: D3F30038 1CE25D36
	s_waitcnt vmcnt(3)                                         // 0000000035C8: BF8C0F73
	v_mfma_f32_16x16x32_fp8_fp8 v[60:63], a[56:57], a[24:25], v[60:63]// 0000000035CC: D3F3003C 1CF23138
	v_mfma_f32_16x16x32_fp8_fp8 v[60:63], a[58:59], a[26:27], v[60:63]// 0000000035D4: D3F3003C 1CF2353A
	buffer_load_dwordx4 a[76:79], v47, s[84:87], 0 offen offset:1024// 0000000035DC: E05C1400 80954C2F
	buffer_load_dword v40, s[20:23], 0 offen lds               // 0000000035E4: E0511000 80050028
	s_add_u32 m0, 0x100, s49                                   // 0000000035EC: 807C31FF 00000100
	v_mfma_f32_16x16x32_fp8_fp8 v[60:63], a[60:61], a[28:29], v[60:63]// 0000000035F4: D3F3003C 1CF2393C
	v_mfma_f32_16x16x32_fp8_fp8 v[60:63], a[62:63], a[30:31], v[60:63]// 0000000035FC: D3F3003C 1CF23D3E
	buffer_load_dword v41, s[20:23], 0 offen lds               // 000000003604: E0511000 80050029
	s_add_u32 m0, 0x200, s49                                   // 00000000360C: 807C31FF 00000200
	v_mfma_f32_16x16x32_fp8_fp8 v[64:67], a[56:57], a[32:33], v[64:67]// 000000003614: D3F30040 1D024138
	v_mfma_f32_16x16x32_fp8_fp8 v[64:67], a[58:59], a[34:35], v[64:67]// 00000000361C: D3F30040 1D02453A
	buffer_load_dword v42, s[20:23], 0 offen lds               // 000000003624: E0511000 8005002A
	s_add_u32 m0, 0x300, s49                                   // 00000000362C: 807C31FF 00000300
	v_mfma_f32_16x16x32_fp8_fp8 v[64:67], a[60:61], a[36:37], v[64:67]// 000000003634: D3F30040 1D02493C
	v_mfma_f32_16x16x32_fp8_fp8 v[64:67], a[62:63], a[38:39], v[64:67]// 00000000363C: D3F30040 1D024D3E
	buffer_load_dword v43, s[20:23], 0 offen lds               // 000000003644: E0511000 8005002B
	s_add_u32 m0, 0x400, s49                                   // 00000000364C: 807C31FF 00000400
	v_mfma_f32_16x16x32_fp8_fp8 v[68:71], a[56:57], a[40:41], v[68:71]// 000000003654: D3F30044 1D125138
	v_mfma_f32_16x16x32_fp8_fp8 v[68:71], a[58:59], a[42:43], v[68:71]// 00000000365C: D3F30044 1D12553A
	buffer_load_dword v44, s[20:23], 0 offen lds               // 000000003664: E0511000 8005002C
	s_add_u32 m0, 0x500, s49                                   // 00000000366C: 807C31FF 00000500
	s_add_u32 s60, 0x80, s80                                   // 000000003674: 803C50FF 00000080
	s_cmp_lt_u32 s60, s81                                      // 00000000367C: BF0A513C
	s_cselect_b32 s83, s83, 0                                  // 000000003680: 85538053
	v_mfma_f32_16x16x32_fp8_fp8 v[68:71], a[60:61], a[44:45], v[68:71]// 000000003684: D3F30044 1D12593C
	v_mfma_f32_16x16x32_fp8_fp8 v[68:71], a[62:63], a[46:47], v[68:71]// 00000000368C: D3F30044 1D125D3E
	buffer_load_dword v45, s[20:23], 0 offen lds               // 000000003694: E0511000 8005002D
	s_add_u32 m0, 0, s48                                       // 00000000369C: 807C3080
	s_waitcnt vmcnt(6)                                         // 0000000036A0: BF8C0F76
	v_mfma_f32_16x16x32_fp8_fp8 v[72:75], a[64:65], a[24:25], v[72:75]// 0000000036A4: D3F30048 1D223140
	v_mfma_f32_16x16x32_fp8_fp8 v[72:75], a[66:67], a[26:27], v[72:75]// 0000000036AC: D3F30048 1D223542
	buffer_load_dwordx4 a[48:51], v46, s[24:27], 0 offen       // 0000000036B4: E05C1000 8086302E
	v_mfma_f32_16x16x32_fp8_fp8 v[72:75], a[68:69], a[28:29], v[72:75]// 0000000036BC: D3F30048 1D223944
	v_mfma_f32_16x16x32_fp8_fp8 v[72:75], a[70:71], a[30:31], v[72:75]// 0000000036C4: D3F30048 1D223D46
	ds_read_b128 a[0:3], v2                                    // 0000000036CC: DBFE0000 00000002
	ds_read_b128 a[4:7], v2 offset:64                          // 0000000036D4: DBFE0040 04000002
	v_mfma_f32_16x16x32_fp8_fp8 v[84:87], a[72:73], a[24:25], v[84:87]// 0000000036DC: D3F30054 1D523148
	v_mfma_f32_16x16x32_fp8_fp8 v[84:87], a[74:75], a[26:27], v[84:87]// 0000000036E4: D3F30054 1D52354A
	buffer_load_dwordx4 a[52:55], v46, s[24:27], 0 offen offset:1024// 0000000036EC: E05C1400 8086342E
	v_mfma_f32_16x16x32_fp8_fp8 v[84:87], a[76:77], a[28:29], v[84:87]// 0000000036F4: D3F30054 1D52394C
	v_mfma_f32_16x16x32_fp8_fp8 v[84:87], a[78:79], a[30:31], v[84:87]// 0000000036FC: D3F30054 1D523D4E
	ds_read_b128 a[8:11], v2 offset:512                        // 000000003704: DBFE0200 08000002
	ds_read_b128 a[12:15], v2 offset:576                       // 00000000370C: DBFE0240 0C000002
	v_mfma_f32_16x16x32_fp8_fp8 v[76:79], a[64:65], a[32:33], v[76:79]// 000000003714: D3F3004C 1D324140
	v_mfma_f32_16x16x32_fp8_fp8 v[76:79], a[66:67], a[34:35], v[76:79]// 00000000371C: D3F3004C 1D324542
	buffer_load_dwordx4 a[56:59], v47, s[24:27], 0 offen       // 000000003724: E05C1000 8086382F
	v_mfma_f32_16x16x32_fp8_fp8 v[76:79], a[68:69], a[36:37], v[76:79]// 00000000372C: D3F3004C 1D324944
	v_mfma_f32_16x16x32_fp8_fp8 v[76:79], a[70:71], a[38:39], v[76:79]// 000000003734: D3F3004C 1D324D46
	ds_read_b128 a[16:19], v2 offset:1024                      // 00000000373C: DBFE0400 10000002
	ds_read_b128 a[20:23], v2 offset:1088                      // 000000003744: DBFE0440 14000002
	v_mfma_f32_16x16x32_fp8_fp8 v[88:91], a[72:73], a[32:33], v[88:91]// 00000000374C: D3F30058 1D624148
	v_mfma_f32_16x16x32_fp8_fp8 v[88:91], a[74:75], a[34:35], v[88:91]// 000000003754: D3F30058 1D62454A
	buffer_load_dwordx4 a[60:63], v47, s[24:27], 0 offen offset:1024// 00000000375C: E05C1400 80863C2F
	v_mfma_f32_16x16x32_fp8_fp8 v[88:91], a[76:77], a[36:37], v[88:91]// 000000003764: D3F30058 1D62494C
	v_mfma_f32_16x16x32_fp8_fp8 v[88:91], a[78:79], a[38:39], v[88:91]// 00000000376C: D3F30058 1D624D4E
	v_mfma_f32_16x16x32_fp8_fp8 v[80:83], a[64:65], a[40:41], v[80:83]// 000000003774: D3F30050 1D425140
	v_mfma_f32_16x16x32_fp8_fp8 v[80:83], a[66:67], a[42:43], v[80:83]// 00000000377C: D3F30050 1D425542
	v_mfma_f32_16x16x32_fp8_fp8 v[80:83], a[68:69], a[44:45], v[80:83]// 000000003784: D3F30050 1D425944
	s_add_u32 s60, 0x180, s80                                  // 00000000378C: 803C50FF 00000180
	s_cmp_lt_u32 s60, s81                                      // 000000003794: BF0A513C
	s_cselect_b32 s57, s57, 0                                  // 000000003798: 85398039
	v_mfma_f32_16x16x32_fp8_fp8 v[80:83], a[70:71], a[46:47], v[80:83]// 00000000379C: D3F30050 1D425D46
	s_add_u32 s60, 0x100, s80                                  // 0000000037A4: 803C50FF 00000100
	s_cmp_lt_u32 s60, s81                                      // 0000000037AC: BF0A513C
	s_cselect_b32 s58, s58, 0                                  // 0000000037B0: 853A803A
	v_mfma_f32_16x16x32_fp8_fp8 v[92:95], a[72:73], a[40:41], v[92:95]// 0000000037B4: D3F3005C 1D725148
	s_add_u32 s24, s58, s24                                    // 0000000037BC: 8018183A
	s_addc_u32 s25, 0, s25                                     // 0000000037C0: 82191980
	v_mfma_f32_16x16x32_fp8_fp8 v[92:95], a[74:75], a[42:43], v[92:95]// 0000000037C4: D3F3005C 1D72554A
	s_add_u32 s20, s57, s20                                    // 0000000037CC: 80141439
	s_addc_u32 s21, 0, s21                                     // 0000000037D0: 82151580
	v_mfma_f32_16x16x32_fp8_fp8 v[92:95], a[76:77], a[44:45], v[92:95]// 0000000037D4: D3F3005C 1D72594C
	s_add_u32 s84, s83, s84                                    // 0000000037DC: 80545453
	s_addc_u32 s85, 0, s85                                     // 0000000037E0: 82555580
	v_mfma_f32_16x16x32_fp8_fp8 v[92:95], a[78:79], a[46:47], v[92:95]// 0000000037E4: D3F3005C 1D725D4E
	s_addk_i32 s80, 0x80                                       // 0000000037EC: B7500080
	s_cmp_lt_i32 s80, s81                                      // 0000000037F0: BF045150
	s_cbranch_scc0 label_037F                                  // 0000000037F4: BF840001
	s_branch label_0226                                        // 0000000037F8: BF82FEA7

00000000000037fc <label_037F>:
	v_mul_f32_dpp v48, v24, v48 row_newbcast:0 row_mask:0xf bank_mask:0xf// 0000000037FC: 0A6060FA FF015018
	v_mul_f32_dpp v49, v24, v49 row_newbcast:1 row_mask:0xf bank_mask:0xf// 000000003804: 0A6262FA FF015118
	v_mul_f32_dpp v50, v24, v50 row_newbcast:2 row_mask:0xf bank_mask:0xf// 00000000380C: 0A6464FA FF015218
	v_mul_f32_dpp v51, v24, v51 row_newbcast:3 row_mask:0xf bank_mask:0xf// 000000003814: 0A6666FA FF015318
	v_mul_f32_dpp v52, v24, v52 row_newbcast:0 row_mask:0xf bank_mask:0xf// 00000000381C: 0A6868FA FF015018
	v_mul_f32_dpp v53, v24, v53 row_newbcast:1 row_mask:0xf bank_mask:0xf// 000000003824: 0A6A6AFA FF015118
	v_mul_f32_dpp v54, v24, v54 row_newbcast:2 row_mask:0xf bank_mask:0xf// 00000000382C: 0A6C6CFA FF015218
	v_mul_f32_dpp v55, v24, v55 row_newbcast:3 row_mask:0xf bank_mask:0xf// 000000003834: 0A6E6EFA FF015318
	v_mul_f32_dpp v56, v24, v56 row_newbcast:0 row_mask:0xf bank_mask:0xf// 00000000383C: 0A7070FA FF015018
	v_mul_f32_dpp v57, v24, v57 row_newbcast:1 row_mask:0xf bank_mask:0xf// 000000003844: 0A7272FA FF015118
	v_mul_f32_dpp v58, v24, v58 row_newbcast:2 row_mask:0xf bank_mask:0xf// 00000000384C: 0A7474FA FF015218
	v_mul_f32_dpp v59, v24, v59 row_newbcast:3 row_mask:0xf bank_mask:0xf// 000000003854: 0A7676FA FF015318
	v_mul_f32_dpp v60, v24, v60 row_newbcast:4 row_mask:0xf bank_mask:0xf// 00000000385C: 0A7878FA FF015418
	v_mul_f32_dpp v61, v24, v61 row_newbcast:5 row_mask:0xf bank_mask:0xf// 000000003864: 0A7A7AFA FF015518
	v_mul_f32_dpp v62, v24, v62 row_newbcast:6 row_mask:0xf bank_mask:0xf// 00000000386C: 0A7C7CFA FF015618
	v_mul_f32_dpp v63, v24, v63 row_newbcast:7 row_mask:0xf bank_mask:0xf// 000000003874: 0A7E7EFA FF015718
	v_mul_f32_dpp v64, v24, v64 row_newbcast:4 row_mask:0xf bank_mask:0xf// 00000000387C: 0A8080FA FF015418
	v_mul_f32_dpp v65, v24, v65 row_newbcast:5 row_mask:0xf bank_mask:0xf// 000000003884: 0A8282FA FF015518
	v_mul_f32_dpp v66, v24, v66 row_newbcast:6 row_mask:0xf bank_mask:0xf// 00000000388C: 0A8484FA FF015618
	v_mul_f32_dpp v67, v24, v67 row_newbcast:7 row_mask:0xf bank_mask:0xf// 000000003894: 0A8686FA FF015718
	v_mul_f32_dpp v68, v24, v68 row_newbcast:4 row_mask:0xf bank_mask:0xf// 00000000389C: 0A8888FA FF015418
	v_mul_f32_dpp v69, v24, v69 row_newbcast:5 row_mask:0xf bank_mask:0xf// 0000000038A4: 0A8A8AFA FF015518
	v_mul_f32_dpp v70, v24, v70 row_newbcast:6 row_mask:0xf bank_mask:0xf// 0000000038AC: 0A8C8CFA FF015618
	v_mul_f32_dpp v71, v24, v71 row_newbcast:7 row_mask:0xf bank_mask:0xf// 0000000038B4: 0A8E8EFA FF015718
	v_mul_f32_dpp v72, v26, v72 row_newbcast:0 row_mask:0xf bank_mask:0xf// 0000000038BC: 0A9090FA FF01501A
	v_mul_f32_dpp v73, v26, v73 row_newbcast:1 row_mask:0xf bank_mask:0xf// 0000000038C4: 0A9292FA FF01511A
	v_mul_f32_dpp v74, v26, v74 row_newbcast:2 row_mask:0xf bank_mask:0xf// 0000000038CC: 0A9494FA FF01521A
	v_mul_f32_dpp v75, v26, v75 row_newbcast:3 row_mask:0xf bank_mask:0xf// 0000000038D4: 0A9696FA FF01531A
	v_mul_f32_dpp v76, v26, v76 row_newbcast:0 row_mask:0xf bank_mask:0xf// 0000000038DC: 0A9898FA FF01501A
	v_mul_f32_dpp v77, v26, v77 row_newbcast:1 row_mask:0xf bank_mask:0xf// 0000000038E4: 0A9A9AFA FF01511A
	v_mul_f32_dpp v78, v26, v78 row_newbcast:2 row_mask:0xf bank_mask:0xf// 0000000038EC: 0A9C9CFA FF01521A
	v_mul_f32_dpp v79, v26, v79 row_newbcast:3 row_mask:0xf bank_mask:0xf// 0000000038F4: 0A9E9EFA FF01531A
	v_mul_f32_dpp v80, v26, v80 row_newbcast:0 row_mask:0xf bank_mask:0xf// 0000000038FC: 0AA0A0FA FF01501A
	v_mul_f32_dpp v81, v26, v81 row_newbcast:1 row_mask:0xf bank_mask:0xf// 000000003904: 0AA2A2FA FF01511A
	v_mul_f32_dpp v82, v26, v82 row_newbcast:2 row_mask:0xf bank_mask:0xf// 00000000390C: 0AA4A4FA FF01521A
	v_mul_f32_dpp v83, v26, v83 row_newbcast:3 row_mask:0xf bank_mask:0xf// 000000003914: 0AA6A6FA FF01531A
	v_mul_f32_dpp v84, v26, v84 row_newbcast:4 row_mask:0xf bank_mask:0xf// 00000000391C: 0AA8A8FA FF01541A
	v_mul_f32_dpp v85, v26, v85 row_newbcast:5 row_mask:0xf bank_mask:0xf// 000000003924: 0AAAAAFA FF01551A
	v_mul_f32_dpp v86, v26, v86 row_newbcast:6 row_mask:0xf bank_mask:0xf// 00000000392C: 0AACACFA FF01561A
	v_mul_f32_dpp v87, v26, v87 row_newbcast:7 row_mask:0xf bank_mask:0xf// 000000003934: 0AAEAEFA FF01571A
	v_mul_f32_dpp v88, v26, v88 row_newbcast:4 row_mask:0xf bank_mask:0xf// 00000000393C: 0AB0B0FA FF01541A
	v_mul_f32_dpp v89, v26, v89 row_newbcast:5 row_mask:0xf bank_mask:0xf// 000000003944: 0AB2B2FA FF01551A
	v_mul_f32_dpp v90, v26, v90 row_newbcast:6 row_mask:0xf bank_mask:0xf// 00000000394C: 0AB4B4FA FF01561A
	v_mul_f32_dpp v91, v26, v91 row_newbcast:7 row_mask:0xf bank_mask:0xf// 000000003954: 0AB6B6FA FF01571A
	v_mul_f32_dpp v92, v26, v92 row_newbcast:4 row_mask:0xf bank_mask:0xf// 00000000395C: 0AB8B8FA FF01541A
	v_mul_f32_dpp v93, v26, v93 row_newbcast:5 row_mask:0xf bank_mask:0xf// 000000003964: 0ABABAFA FF01551A
	v_mul_f32_dpp v94, v26, v94 row_newbcast:6 row_mask:0xf bank_mask:0xf// 00000000396C: 0ABCBCFA FF01561A
	v_mul_f32_dpp v95, v26, v95 row_newbcast:7 row_mask:0xf bank_mask:0xf// 000000003974: 0ABEBEFA FF01571A
	v_mul_f32_e32 v31, v31, v96                                // 00000000397C: 0A3EC11F
	v_mov_b32_e32 v4, v31                                      // 000000003980: 7E08031F
	v_mov_b32_e32 v5, v4                                       // 000000003984: 7E0A0304
	v_pk_mul_f32 v[48:49], v[4:5], v[48:49]                    // 000000003988: D3B14030 18026104
	v_pk_mul_f32 v[72:73], v[4:5], v[72:73]                    // 000000003990: D3B14048 18029104
	v_pk_mul_f32 v[50:51], v[4:5], v[50:51]                    // 000000003998: D3B14032 18026504
	v_pk_mul_f32 v[74:75], v[4:5], v[74:75]                    // 0000000039A0: D3B1404A 18029504
	v_pk_mul_f32 v[60:61], v[4:5], v[60:61]                    // 0000000039A8: D3B1403C 18027904
	v_pk_mul_f32 v[84:85], v[4:5], v[84:85]                    // 0000000039B0: D3B14054 1802A904
	v_pk_mul_f32 v[62:63], v[4:5], v[62:63]                    // 0000000039B8: D3B1403E 18027D04
	v_pk_mul_f32 v[86:87], v[4:5], v[86:87]                    // 0000000039C0: D3B14056 1802AD04
	v_mul_f32_e32 v32, v32, v97                                // 0000000039C8: 0A40C320
	v_mov_b32_e32 v4, v32                                      // 0000000039CC: 7E080320
	v_mov_b32_e32 v5, v4                                       // 0000000039D0: 7E0A0304
	v_pk_mul_f32 v[52:53], v[4:5], v[52:53]                    // 0000000039D4: D3B14034 18026904
	v_pk_mul_f32 v[76:77], v[4:5], v[76:77]                    // 0000000039DC: D3B1404C 18029904
	v_pk_mul_f32 v[54:55], v[4:5], v[54:55]                    // 0000000039E4: D3B14036 18026D04
	v_pk_mul_f32 v[78:79], v[4:5], v[78:79]                    // 0000000039EC: D3B1404E 18029D04
	v_pk_mul_f32 v[64:65], v[4:5], v[64:65]                    // 0000000039F4: D3B14040 18028104
	v_pk_mul_f32 v[88:89], v[4:5], v[88:89]                    // 0000000039FC: D3B14058 1802B104
	v_pk_mul_f32 v[66:67], v[4:5], v[66:67]                    // 000000003A04: D3B14042 18028504
	v_pk_mul_f32 v[90:91], v[4:5], v[90:91]                    // 000000003A0C: D3B1405A 1802B504
	v_mul_f32_e32 v33, v33, v98                                // 000000003A14: 0A42C521
	v_mov_b32_e32 v4, v33                                      // 000000003A18: 7E080321
	v_mov_b32_e32 v5, v4                                       // 000000003A1C: 7E0A0304
	v_pk_mul_f32 v[56:57], v[4:5], v[56:57]                    // 000000003A20: D3B14038 18027104
	v_pk_mul_f32 v[80:81], v[4:5], v[80:81]                    // 000000003A28: D3B14050 1802A104
	v_pk_mul_f32 v[58:59], v[4:5], v[58:59]                    // 000000003A30: D3B1403A 18027504
	v_pk_mul_f32 v[82:83], v[4:5], v[82:83]                    // 000000003A38: D3B14052 1802A504
	v_pk_mul_f32 v[68:69], v[4:5], v[68:69]                    // 000000003A40: D3B14044 18028904
	v_pk_mul_f32 v[92:93], v[4:5], v[92:93]                    // 000000003A48: D3B1405C 1802B904
	v_pk_mul_f32 v[70:71], v[4:5], v[70:71]                    // 000000003A50: D3B14046 18028D04
	v_pk_mul_f32 v[94:95], v[4:5], v[94:95]                    // 000000003A58: D3B1405E 1802BD04
	s_cmp_eq_u32 s88, 0                                        // 000000003A60: BF068058
	s_cbranch_scc0 label_07B3                                  // 000000003A64: BF840399
	s_cmp_eq_u32 s89, 0                                        // 000000003A68: BF068059
	s_cbranch_scc1 label_0511                                  // 000000003A6C: BF8500F5
	v_mov_b32_e32 v8, v1                                       // 000000003A70: 7E100301
	v_mov_b32_e32 v9, v1                                       // 000000003A74: 7E120301
	s_mov_b32 s60, s6                                          // 000000003A78: BEBC0006
	s_mov_b32 s61, s6                                          // 000000003A7C: BEBD0006
	v_pk_mul_f32 v[4:5], v[48:49], v[48:49]                    // 000000003A80: D3B14004 18026130
	v_pk_mul_f32 v[6:7], v[50:51], v[50:51]                    // 000000003A88: D3B14006 18026532
	v_pk_fma_f32 v[4:5], v[4:5], s[78:79], v[8:9]              // 000000003A90: D3B04004 1C209D04
	v_pk_fma_f32 v[6:7], v[6:7], s[78:79], v[8:9]              // 000000003A98: D3B04006 1C209D06
	v_pk_mul_f32 v[4:5], v[4:5], v[48:49]                      // 000000003AA0: D3B14004 18026104
	v_pk_mul_f32 v[6:7], v[6:7], v[50:51]                      // 000000003AA8: D3B14006 18026506
	v_pk_mul_f32 v[4:5], v[4:5], s[60:61]                      // 000000003AB0: D3B14004 18007904
	v_pk_mul_f32 v[6:7], v[6:7], s[60:61]                      // 000000003AB8: D3B14006 18007906
	v_exp_f32_e32 v4, v4                                       // 000000003AC0: 7E084104
	v_exp_f32_e32 v5, v5                                       // 000000003AC4: 7E0A4105
	v_exp_f32_e32 v6, v6                                       // 000000003AC8: 7E0C4106
	v_exp_f32_e32 v7, v7                                       // 000000003ACC: 7E0E4107
	v_add_f32_e64 v4, v4, 1.0                                  // 000000003AD0: D1010004 0001E504
	v_add_f32_e64 v5, v5, 1.0                                  // 000000003AD8: D1010005 0001E505
	v_add_f32_e64 v6, v6, 1.0                                  // 000000003AE0: D1010006 0001E506
	v_add_f32_e64 v7, v7, 1.0                                  // 000000003AE8: D1010007 0001E507
	v_rcp_f32_e32 v4, v4                                       // 000000003AF0: 7E084504
	v_rcp_f32_e32 v5, v5                                       // 000000003AF4: 7E0A4505
	v_rcp_f32_e32 v6, v6                                       // 000000003AF8: 7E0C4506
	v_rcp_f32_e32 v7, v7                                       // 000000003AFC: 7E0E4507
	v_mul_f32_e32 v48, v48, v4                                 // 000000003B00: 0A600930
	v_mul_f32_e32 v49, v49, v5                                 // 000000003B04: 0A620B31
	v_mul_f32_e32 v50, v50, v6                                 // 000000003B08: 0A640D32
	v_mul_f32_e32 v51, v51, v7                                 // 000000003B0C: 0A660F33
	v_mul_f32_e32 v48, v48, v72                                // 000000003B10: 0A609130
	v_mul_f32_e32 v49, v49, v73                                // 000000003B14: 0A629331
	v_mul_f32_e32 v50, v50, v74                                // 000000003B18: 0A649532
	v_mul_f32_e32 v51, v51, v75                                // 000000003B1C: 0A669733
	v_pk_mul_f32 v[4:5], v[52:53], v[52:53]                    // 000000003B20: D3B14004 18026934
	v_pk_mul_f32 v[6:7], v[54:55], v[54:55]                    // 000000003B28: D3B14006 18026D36
	v_pk_fma_f32 v[4:5], v[4:5], s[78:79], v[8:9]              // 000000003B30: D3B04004 1C209D04
	v_pk_fma_f32 v[6:7], v[6:7], s[78:79], v[8:9]              // 000000003B38: D3B04006 1C209D06
	v_pk_mul_f32 v[4:5], v[4:5], v[52:53]                      // 000000003B40: D3B14004 18026904
	v_pk_mul_f32 v[6:7], v[6:7], v[54:55]                      // 000000003B48: D3B14006 18026D06
	v_pk_mul_f32 v[4:5], v[4:5], s[60:61]                      // 000000003B50: D3B14004 18007904
	v_pk_mul_f32 v[6:7], v[6:7], s[60:61]                      // 000000003B58: D3B14006 18007906
	v_exp_f32_e32 v4, v4                                       // 000000003B60: 7E084104
	v_exp_f32_e32 v5, v5                                       // 000000003B64: 7E0A4105
	v_exp_f32_e32 v6, v6                                       // 000000003B68: 7E0C4106
	v_exp_f32_e32 v7, v7                                       // 000000003B6C: 7E0E4107
	v_add_f32_e64 v4, v4, 1.0                                  // 000000003B70: D1010004 0001E504
	v_add_f32_e64 v5, v5, 1.0                                  // 000000003B78: D1010005 0001E505
	v_add_f32_e64 v6, v6, 1.0                                  // 000000003B80: D1010006 0001E506
	v_add_f32_e64 v7, v7, 1.0                                  // 000000003B88: D1010007 0001E507
	v_rcp_f32_e32 v4, v4                                       // 000000003B90: 7E084504
	v_rcp_f32_e32 v5, v5                                       // 000000003B94: 7E0A4505
	v_rcp_f32_e32 v6, v6                                       // 000000003B98: 7E0C4506
	v_rcp_f32_e32 v7, v7                                       // 000000003B9C: 7E0E4507
	v_mul_f32_e32 v52, v52, v4                                 // 000000003BA0: 0A680934
	v_mul_f32_e32 v53, v53, v5                                 // 000000003BA4: 0A6A0B35
	v_mul_f32_e32 v54, v54, v6                                 // 000000003BA8: 0A6C0D36
	v_mul_f32_e32 v55, v55, v7                                 // 000000003BAC: 0A6E0F37
	v_mul_f32_e32 v52, v52, v76                                // 000000003BB0: 0A689934
	v_mul_f32_e32 v53, v53, v77                                // 000000003BB4: 0A6A9B35
	v_mul_f32_e32 v54, v54, v78                                // 000000003BB8: 0A6C9D36
	v_mul_f32_e32 v55, v55, v79                                // 000000003BBC: 0A6E9F37
	v_pk_mul_f32 v[4:5], v[56:57], v[56:57]                    // 000000003BC0: D3B14004 18027138
	v_pk_mul_f32 v[6:7], v[58:59], v[58:59]                    // 000000003BC8: D3B14006 1802753A
	v_pk_fma_f32 v[4:5], v[4:5], s[78:79], v[8:9]              // 000000003BD0: D3B04004 1C209D04
	v_pk_fma_f32 v[6:7], v[6:7], s[78:79], v[8:9]              // 000000003BD8: D3B04006 1C209D06
	v_pk_mul_f32 v[4:5], v[4:5], v[56:57]                      // 000000003BE0: D3B14004 18027104
	v_pk_mul_f32 v[6:7], v[6:7], v[58:59]                      // 000000003BE8: D3B14006 18027506
	v_pk_mul_f32 v[4:5], v[4:5], s[60:61]                      // 000000003BF0: D3B14004 18007904
	v_pk_mul_f32 v[6:7], v[6:7], s[60:61]                      // 000000003BF8: D3B14006 18007906
	v_exp_f32_e32 v4, v4                                       // 000000003C00: 7E084104
	v_exp_f32_e32 v5, v5                                       // 000000003C04: 7E0A4105
	v_exp_f32_e32 v6, v6                                       // 000000003C08: 7E0C4106
	v_exp_f32_e32 v7, v7                                       // 000000003C0C: 7E0E4107
	v_add_f32_e64 v4, v4, 1.0                                  // 000000003C10: D1010004 0001E504
	v_add_f32_e64 v5, v5, 1.0                                  // 000000003C18: D1010005 0001E505
	v_add_f32_e64 v6, v6, 1.0                                  // 000000003C20: D1010006 0001E506
	v_add_f32_e64 v7, v7, 1.0                                  // 000000003C28: D1010007 0001E507
	v_rcp_f32_e32 v4, v4                                       // 000000003C30: 7E084504
	v_rcp_f32_e32 v5, v5                                       // 000000003C34: 7E0A4505
	v_rcp_f32_e32 v6, v6                                       // 000000003C38: 7E0C4506
	v_rcp_f32_e32 v7, v7                                       // 000000003C3C: 7E0E4507
	v_mul_f32_e32 v56, v56, v4                                 // 000000003C40: 0A700938
	v_mul_f32_e32 v57, v57, v5                                 // 000000003C44: 0A720B39
	v_mul_f32_e32 v58, v58, v6                                 // 000000003C48: 0A740D3A
	v_mul_f32_e32 v59, v59, v7                                 // 000000003C4C: 0A760F3B
	v_mul_f32_e32 v56, v56, v80                                // 000000003C50: 0A70A138
	v_mul_f32_e32 v57, v57, v81                                // 000000003C54: 0A72A339
	v_mul_f32_e32 v58, v58, v82                                // 000000003C58: 0A74A53A
	v_mul_f32_e32 v59, v59, v83                                // 000000003C5C: 0A76A73B
	v_pk_mul_f32 v[4:5], v[60:61], v[60:61]                    // 000000003C60: D3B14004 1802793C
	v_pk_mul_f32 v[6:7], v[62:63], v[62:63]                    // 000000003C68: D3B14006 18027D3E
	v_pk_fma_f32 v[4:5], v[4:5], s[78:79], v[8:9]              // 000000003C70: D3B04004 1C209D04
	v_pk_fma_f32 v[6:7], v[6:7], s[78:79], v[8:9]              // 000000003C78: D3B04006 1C209D06
	v_pk_mul_f32 v[4:5], v[4:5], v[60:61]                      // 000000003C80: D3B14004 18027904
	v_pk_mul_f32 v[6:7], v[6:7], v[62:63]                      // 000000003C88: D3B14006 18027D06
	v_pk_mul_f32 v[4:5], v[4:5], s[60:61]                      // 000000003C90: D3B14004 18007904
	v_pk_mul_f32 v[6:7], v[6:7], s[60:61]                      // 000000003C98: D3B14006 18007906
	v_exp_f32_e32 v4, v4                                       // 000000003CA0: 7E084104
	v_exp_f32_e32 v5, v5                                       // 000000003CA4: 7E0A4105
	v_exp_f32_e32 v6, v6                                       // 000000003CA8: 7E0C4106
	v_exp_f32_e32 v7, v7                                       // 000000003CAC: 7E0E4107
	v_add_f32_e64 v4, v4, 1.0                                  // 000000003CB0: D1010004 0001E504
	v_add_f32_e64 v5, v5, 1.0                                  // 000000003CB8: D1010005 0001E505
	v_add_f32_e64 v6, v6, 1.0                                  // 000000003CC0: D1010006 0001E506
	v_add_f32_e64 v7, v7, 1.0                                  // 000000003CC8: D1010007 0001E507
	v_rcp_f32_e32 v4, v4                                       // 000000003CD0: 7E084504
	v_rcp_f32_e32 v5, v5                                       // 000000003CD4: 7E0A4505
	v_rcp_f32_e32 v6, v6                                       // 000000003CD8: 7E0C4506
	v_rcp_f32_e32 v7, v7                                       // 000000003CDC: 7E0E4507
	v_mul_f32_e32 v60, v60, v4                                 // 000000003CE0: 0A78093C
	v_mul_f32_e32 v61, v61, v5                                 // 000000003CE4: 0A7A0B3D
	v_mul_f32_e32 v62, v62, v6                                 // 000000003CE8: 0A7C0D3E
	v_mul_f32_e32 v63, v63, v7                                 // 000000003CEC: 0A7E0F3F
	v_mul_f32_e32 v60, v60, v84                                // 000000003CF0: 0A78A93C
	v_mul_f32_e32 v61, v61, v85                                // 000000003CF4: 0A7AAB3D
	v_mul_f32_e32 v62, v62, v86                                // 000000003CF8: 0A7CAD3E
	v_mul_f32_e32 v63, v63, v87                                // 000000003CFC: 0A7EAF3F
	v_pk_mul_f32 v[4:5], v[64:65], v[64:65]                    // 000000003D00: D3B14004 18028140
	v_pk_mul_f32 v[6:7], v[66:67], v[66:67]                    // 000000003D08: D3B14006 18028542
	v_pk_fma_f32 v[4:5], v[4:5], s[78:79], v[8:9]              // 000000003D10: D3B04004 1C209D04
	v_pk_fma_f32 v[6:7], v[6:7], s[78:79], v[8:9]              // 000000003D18: D3B04006 1C209D06
	v_pk_mul_f32 v[4:5], v[4:5], v[64:65]                      // 000000003D20: D3B14004 18028104
	v_pk_mul_f32 v[6:7], v[6:7], v[66:67]                      // 000000003D28: D3B14006 18028506
	v_pk_mul_f32 v[4:5], v[4:5], s[60:61]                      // 000000003D30: D3B14004 18007904
	v_pk_mul_f32 v[6:7], v[6:7], s[60:61]                      // 000000003D38: D3B14006 18007906
	v_exp_f32_e32 v4, v4                                       // 000000003D40: 7E084104
	v_exp_f32_e32 v5, v5                                       // 000000003D44: 7E0A4105
	v_exp_f32_e32 v6, v6                                       // 000000003D48: 7E0C4106
	v_exp_f32_e32 v7, v7                                       // 000000003D4C: 7E0E4107
	v_add_f32_e64 v4, v4, 1.0                                  // 000000003D50: D1010004 0001E504
	v_add_f32_e64 v5, v5, 1.0                                  // 000000003D58: D1010005 0001E505
	v_add_f32_e64 v6, v6, 1.0                                  // 000000003D60: D1010006 0001E506
	v_add_f32_e64 v7, v7, 1.0                                  // 000000003D68: D1010007 0001E507
	v_rcp_f32_e32 v4, v4                                       // 000000003D70: 7E084504
	v_rcp_f32_e32 v5, v5                                       // 000000003D74: 7E0A4505
	v_rcp_f32_e32 v6, v6                                       // 000000003D78: 7E0C4506
	v_rcp_f32_e32 v7, v7                                       // 000000003D7C: 7E0E4507
	v_mul_f32_e32 v64, v64, v4                                 // 000000003D80: 0A800940
	v_mul_f32_e32 v65, v65, v5                                 // 000000003D84: 0A820B41
	v_mul_f32_e32 v66, v66, v6                                 // 000000003D88: 0A840D42
	v_mul_f32_e32 v67, v67, v7                                 // 000000003D8C: 0A860F43
	v_mul_f32_e32 v64, v64, v88                                // 000000003D90: 0A80B140
	v_mul_f32_e32 v65, v65, v89                                // 000000003D94: 0A82B341
	v_mul_f32_e32 v66, v66, v90                                // 000000003D98: 0A84B542
	v_mul_f32_e32 v67, v67, v91                                // 000000003D9C: 0A86B743
	v_pk_mul_f32 v[4:5], v[68:69], v[68:69]                    // 000000003DA0: D3B14004 18028944
	v_pk_mul_f32 v[6:7], v[70:71], v[70:71]                    // 000000003DA8: D3B14006 18028D46
	v_pk_fma_f32 v[4:5], v[4:5], s[78:79], v[8:9]              // 000000003DB0: D3B04004 1C209D04
	v_pk_fma_f32 v[6:7], v[6:7], s[78:79], v[8:9]              // 000000003DB8: D3B04006 1C209D06
	v_pk_mul_f32 v[4:5], v[4:5], v[68:69]                      // 000000003DC0: D3B14004 18028904
	v_pk_mul_f32 v[6:7], v[6:7], v[70:71]                      // 000000003DC8: D3B14006 18028D06
	v_pk_mul_f32 v[4:5], v[4:5], s[60:61]                      // 000000003DD0: D3B14004 18007904
	v_pk_mul_f32 v[6:7], v[6:7], s[60:61]                      // 000000003DD8: D3B14006 18007906
	v_exp_f32_e32 v4, v4                                       // 000000003DE0: 7E084104
	v_exp_f32_e32 v5, v5                                       // 000000003DE4: 7E0A4105
	v_exp_f32_e32 v6, v6                                       // 000000003DE8: 7E0C4106
	v_exp_f32_e32 v7, v7                                       // 000000003DEC: 7E0E4107
	v_add_f32_e64 v4, v4, 1.0                                  // 000000003DF0: D1010004 0001E504
	v_add_f32_e64 v5, v5, 1.0                                  // 000000003DF8: D1010005 0001E505
	v_add_f32_e64 v6, v6, 1.0                                  // 000000003E00: D1010006 0001E506
	v_add_f32_e64 v7, v7, 1.0                                  // 000000003E08: D1010007 0001E507
	v_rcp_f32_e32 v4, v4                                       // 000000003E10: 7E084504
	v_rcp_f32_e32 v5, v5                                       // 000000003E14: 7E0A4505
	v_rcp_f32_e32 v6, v6                                       // 000000003E18: 7E0C4506
	v_rcp_f32_e32 v7, v7                                       // 000000003E1C: 7E0E4507
	v_mul_f32_e32 v68, v68, v4                                 // 000000003E20: 0A880944
	v_mul_f32_e32 v69, v69, v5                                 // 000000003E24: 0A8A0B45
	v_mul_f32_e32 v70, v70, v6                                 // 000000003E28: 0A8C0D46
	v_mul_f32_e32 v71, v71, v7                                 // 000000003E2C: 0A8E0F47
	v_mul_f32_e32 v68, v68, v92                                // 000000003E30: 0A88B944
	v_mul_f32_e32 v69, v69, v93                                // 000000003E34: 0A8ABB45
	v_mul_f32_e32 v70, v70, v94                                // 000000003E38: 0A8CBD46
	v_mul_f32_e32 v71, v71, v95                                // 000000003E3C: 0A8EBF47
	s_branch label_05D1                                        // 000000003E40: BF8200C0

0000000000003e44 <label_0511>:
	v_mul_f32_e64 v4, -v48, s6                                 // 000000003E44: D1050004 20000D30
	v_mul_f32_e64 v5, -v49, s6                                 // 000000003E4C: D1050005 20000D31
	v_mul_f32_e64 v6, -v50, s6                                 // 000000003E54: D1050006 20000D32
	v_mul_f32_e64 v7, -v51, s6                                 // 000000003E5C: D1050007 20000D33
	v_exp_f32_e32 v4, v4                                       // 000000003E64: 7E084104
	v_exp_f32_e32 v5, v5                                       // 000000003E68: 7E0A4105
	v_exp_f32_e32 v6, v6                                       // 000000003E6C: 7E0C4106
	v_exp_f32_e32 v7, v7                                       // 000000003E70: 7E0E4107
	v_add_f32_e64 v4, v4, 1.0                                  // 000000003E74: D1010004 0001E504
	v_add_f32_e64 v5, v5, 1.0                                  // 000000003E7C: D1010005 0001E505
	v_add_f32_e64 v6, v6, 1.0                                  // 000000003E84: D1010006 0001E506
	v_add_f32_e64 v7, v7, 1.0                                  // 000000003E8C: D1010007 0001E507
	v_rcp_f32_e32 v4, v4                                       // 000000003E94: 7E084504
	v_rcp_f32_e32 v5, v5                                       // 000000003E98: 7E0A4505
	v_rcp_f32_e32 v6, v6                                       // 000000003E9C: 7E0C4506
	v_rcp_f32_e32 v7, v7                                       // 000000003EA0: 7E0E4507
	v_mul_f32_e32 v48, v48, v4                                 // 000000003EA4: 0A600930
	v_mul_f32_e32 v49, v49, v5                                 // 000000003EA8: 0A620B31
	v_mul_f32_e32 v50, v50, v6                                 // 000000003EAC: 0A640D32
	v_mul_f32_e32 v51, v51, v7                                 // 000000003EB0: 0A660F33
	v_mul_f32_e32 v48, v48, v72                                // 000000003EB4: 0A609130
	v_mul_f32_e32 v49, v49, v73                                // 000000003EB8: 0A629331
	v_mul_f32_e32 v50, v50, v74                                // 000000003EBC: 0A649532
	v_mul_f32_e32 v51, v51, v75                                // 000000003EC0: 0A669733
	v_mul_f32_e64 v4, -v52, s6                                 // 000000003EC4: D1050004 20000D34
	v_mul_f32_e64 v5, -v53, s6                                 // 000000003ECC: D1050005 20000D35
	v_mul_f32_e64 v6, -v54, s6                                 // 000000003ED4: D1050006 20000D36
	v_mul_f32_e64 v7, -v55, s6                                 // 000000003EDC: D1050007 20000D37
	v_exp_f32_e32 v4, v4                                       // 000000003EE4: 7E084104
	v_exp_f32_e32 v5, v5                                       // 000000003EE8: 7E0A4105
	v_exp_f32_e32 v6, v6                                       // 000000003EEC: 7E0C4106
	v_exp_f32_e32 v7, v7                                       // 000000003EF0: 7E0E4107
	v_add_f32_e64 v4, v4, 1.0                                  // 000000003EF4: D1010004 0001E504
	v_add_f32_e64 v5, v5, 1.0                                  // 000000003EFC: D1010005 0001E505
	v_add_f32_e64 v6, v6, 1.0                                  // 000000003F04: D1010006 0001E506
	v_add_f32_e64 v7, v7, 1.0                                  // 000000003F0C: D1010007 0001E507
	v_rcp_f32_e32 v4, v4                                       // 000000003F14: 7E084504
	v_rcp_f32_e32 v5, v5                                       // 000000003F18: 7E0A4505
	v_rcp_f32_e32 v6, v6                                       // 000000003F1C: 7E0C4506
	v_rcp_f32_e32 v7, v7                                       // 000000003F20: 7E0E4507
	v_mul_f32_e32 v52, v52, v4                                 // 000000003F24: 0A680934
	v_mul_f32_e32 v53, v53, v5                                 // 000000003F28: 0A6A0B35
	v_mul_f32_e32 v54, v54, v6                                 // 000000003F2C: 0A6C0D36
	v_mul_f32_e32 v55, v55, v7                                 // 000000003F30: 0A6E0F37
	v_mul_f32_e32 v52, v52, v76                                // 000000003F34: 0A689934
	v_mul_f32_e32 v53, v53, v77                                // 000000003F38: 0A6A9B35
	v_mul_f32_e32 v54, v54, v78                                // 000000003F3C: 0A6C9D36
	v_mul_f32_e32 v55, v55, v79                                // 000000003F40: 0A6E9F37
	v_mul_f32_e64 v4, -v56, s6                                 // 000000003F44: D1050004 20000D38
	v_mul_f32_e64 v5, -v57, s6                                 // 000000003F4C: D1050005 20000D39
	v_mul_f32_e64 v6, -v58, s6                                 // 000000003F54: D1050006 20000D3A
	v_mul_f32_e64 v7, -v59, s6                                 // 000000003F5C: D1050007 20000D3B
	v_exp_f32_e32 v4, v4                                       // 000000003F64: 7E084104
	v_exp_f32_e32 v5, v5                                       // 000000003F68: 7E0A4105
	v_exp_f32_e32 v6, v6                                       // 000000003F6C: 7E0C4106
	v_exp_f32_e32 v7, v7                                       // 000000003F70: 7E0E4107
	v_add_f32_e64 v4, v4, 1.0                                  // 000000003F74: D1010004 0001E504
	v_add_f32_e64 v5, v5, 1.0                                  // 000000003F7C: D1010005 0001E505
	v_add_f32_e64 v6, v6, 1.0                                  // 000000003F84: D1010006 0001E506
	v_add_f32_e64 v7, v7, 1.0                                  // 000000003F8C: D1010007 0001E507
	v_rcp_f32_e32 v4, v4                                       // 000000003F94: 7E084504
	v_rcp_f32_e32 v5, v5                                       // 000000003F98: 7E0A4505
	v_rcp_f32_e32 v6, v6                                       // 000000003F9C: 7E0C4506
	v_rcp_f32_e32 v7, v7                                       // 000000003FA0: 7E0E4507
	v_mul_f32_e32 v56, v56, v4                                 // 000000003FA4: 0A700938
	v_mul_f32_e32 v57, v57, v5                                 // 000000003FA8: 0A720B39
	v_mul_f32_e32 v58, v58, v6                                 // 000000003FAC: 0A740D3A
	v_mul_f32_e32 v59, v59, v7                                 // 000000003FB0: 0A760F3B
	v_mul_f32_e32 v56, v56, v80                                // 000000003FB4: 0A70A138
	v_mul_f32_e32 v57, v57, v81                                // 000000003FB8: 0A72A339
	v_mul_f32_e32 v58, v58, v82                                // 000000003FBC: 0A74A53A
	v_mul_f32_e32 v59, v59, v83                                // 000000003FC0: 0A76A73B
	v_mul_f32_e64 v4, -v60, s6                                 // 000000003FC4: D1050004 20000D3C
	v_mul_f32_e64 v5, -v61, s6                                 // 000000003FCC: D1050005 20000D3D
	v_mul_f32_e64 v6, -v62, s6                                 // 000000003FD4: D1050006 20000D3E
	v_mul_f32_e64 v7, -v63, s6                                 // 000000003FDC: D1050007 20000D3F
	v_exp_f32_e32 v4, v4                                       // 000000003FE4: 7E084104
	v_exp_f32_e32 v5, v5                                       // 000000003FE8: 7E0A4105
	v_exp_f32_e32 v6, v6                                       // 000000003FEC: 7E0C4106
	v_exp_f32_e32 v7, v7                                       // 000000003FF0: 7E0E4107
	v_add_f32_e64 v4, v4, 1.0                                  // 000000003FF4: D1010004 0001E504
	v_add_f32_e64 v5, v5, 1.0                                  // 000000003FFC: D1010005 0001E505
	v_add_f32_e64 v6, v6, 1.0                                  // 000000004004: D1010006 0001E506
	v_add_f32_e64 v7, v7, 1.0                                  // 00000000400C: D1010007 0001E507
	v_rcp_f32_e32 v4, v4                                       // 000000004014: 7E084504
	v_rcp_f32_e32 v5, v5                                       // 000000004018: 7E0A4505
	v_rcp_f32_e32 v6, v6                                       // 00000000401C: 7E0C4506
	v_rcp_f32_e32 v7, v7                                       // 000000004020: 7E0E4507
	v_mul_f32_e32 v60, v60, v4                                 // 000000004024: 0A78093C
	v_mul_f32_e32 v61, v61, v5                                 // 000000004028: 0A7A0B3D
	v_mul_f32_e32 v62, v62, v6                                 // 00000000402C: 0A7C0D3E
	v_mul_f32_e32 v63, v63, v7                                 // 000000004030: 0A7E0F3F
	v_mul_f32_e32 v60, v60, v84                                // 000000004034: 0A78A93C
	v_mul_f32_e32 v61, v61, v85                                // 000000004038: 0A7AAB3D
	v_mul_f32_e32 v62, v62, v86                                // 00000000403C: 0A7CAD3E
	v_mul_f32_e32 v63, v63, v87                                // 000000004040: 0A7EAF3F
	v_mul_f32_e64 v4, -v64, s6                                 // 000000004044: D1050004 20000D40
	v_mul_f32_e64 v5, -v65, s6                                 // 00000000404C: D1050005 20000D41
	v_mul_f32_e64 v6, -v66, s6                                 // 000000004054: D1050006 20000D42
	v_mul_f32_e64 v7, -v67, s6                                 // 00000000405C: D1050007 20000D43
	v_exp_f32_e32 v4, v4                                       // 000000004064: 7E084104
	v_exp_f32_e32 v5, v5                                       // 000000004068: 7E0A4105
	v_exp_f32_e32 v6, v6                                       // 00000000406C: 7E0C4106
	v_exp_f32_e32 v7, v7                                       // 000000004070: 7E0E4107
	v_add_f32_e64 v4, v4, 1.0                                  // 000000004074: D1010004 0001E504
	v_add_f32_e64 v5, v5, 1.0                                  // 00000000407C: D1010005 0001E505
	v_add_f32_e64 v6, v6, 1.0                                  // 000000004084: D1010006 0001E506
	v_add_f32_e64 v7, v7, 1.0                                  // 00000000408C: D1010007 0001E507
	v_rcp_f32_e32 v4, v4                                       // 000000004094: 7E084504
	v_rcp_f32_e32 v5, v5                                       // 000000004098: 7E0A4505
	v_rcp_f32_e32 v6, v6                                       // 00000000409C: 7E0C4506
	v_rcp_f32_e32 v7, v7                                       // 0000000040A0: 7E0E4507
	v_mul_f32_e32 v64, v64, v4                                 // 0000000040A4: 0A800940
	v_mul_f32_e32 v65, v65, v5                                 // 0000000040A8: 0A820B41
	v_mul_f32_e32 v66, v66, v6                                 // 0000000040AC: 0A840D42
	v_mul_f32_e32 v67, v67, v7                                 // 0000000040B0: 0A860F43
	v_mul_f32_e32 v64, v64, v88                                // 0000000040B4: 0A80B140
	v_mul_f32_e32 v65, v65, v89                                // 0000000040B8: 0A82B341
	v_mul_f32_e32 v66, v66, v90                                // 0000000040BC: 0A84B542
	v_mul_f32_e32 v67, v67, v91                                // 0000000040C0: 0A86B743
	v_mul_f32_e64 v4, -v68, s6                                 // 0000000040C4: D1050004 20000D44
	v_mul_f32_e64 v5, -v69, s6                                 // 0000000040CC: D1050005 20000D45
	v_mul_f32_e64 v6, -v70, s6                                 // 0000000040D4: D1050006 20000D46
	v_mul_f32_e64 v7, -v71, s6                                 // 0000000040DC: D1050007 20000D47
	v_exp_f32_e32 v4, v4                                       // 0000000040E4: 7E084104
	v_exp_f32_e32 v5, v5                                       // 0000000040E8: 7E0A4105
	v_exp_f32_e32 v6, v6                                       // 0000000040EC: 7E0C4106
	v_exp_f32_e32 v7, v7                                       // 0000000040F0: 7E0E4107
	v_add_f32_e64 v4, v4, 1.0                                  // 0000000040F4: D1010004 0001E504
	v_add_f32_e64 v5, v5, 1.0                                  // 0000000040FC: D1010005 0001E505
	v_add_f32_e64 v6, v6, 1.0                                  // 000000004104: D1010006 0001E506
	v_add_f32_e64 v7, v7, 1.0                                  // 00000000410C: D1010007 0001E507
	v_rcp_f32_e32 v4, v4                                       // 000000004114: 7E084504
	v_rcp_f32_e32 v5, v5                                       // 000000004118: 7E0A4505
	v_rcp_f32_e32 v6, v6                                       // 00000000411C: 7E0C4506
	v_rcp_f32_e32 v7, v7                                       // 000000004120: 7E0E4507
	v_mul_f32_e32 v68, v68, v4                                 // 000000004124: 0A880944
	v_mul_f32_e32 v69, v69, v5                                 // 000000004128: 0A8A0B45
	v_mul_f32_e32 v70, v70, v6                                 // 00000000412C: 0A8C0D46
	v_mul_f32_e32 v71, v71, v7                                 // 000000004130: 0A8E0F47
	v_mul_f32_e32 v68, v68, v92                                // 000000004134: 0A88B944
	v_mul_f32_e32 v69, v69, v93                                // 000000004138: 0A8ABB45
	v_mul_f32_e32 v70, v70, v94                                // 00000000413C: 0A8CBD46
	v_mul_f32_e32 v71, v71, v95                                // 000000004140: 0A8EBF47

0000000000004144 <label_05D1>:
	v_cmp_u_f32_e64 s[46:47], v48, v48                         // 000000004144: D048002E 00026130
	v_add3_u32 v16, v48, v19, 1                                // 00000000414C: D1FF0010 02062730
	v_cndmask_b32_e64 v4, v16, v18, s[46:47]                   // 000000004154: D1000004 00BA2510
	v_cmp_u_f32_e64 s[46:47], v49, v49                         // 00000000415C: D048002E 00026331
	v_add3_u32 v16, v49, v19, 1                                // 000000004164: D1FF0010 02062731
	v_cndmask_b32_e64 v5, v16, v18, s[46:47]                   // 00000000416C: D1000005 00BA2510
	v_perm_b32 v48, v5, v4, s52                                // 000000004174: D1ED0030 00D20905
	v_cmp_u_f32_e64 s[46:47], v50, v50                         // 00000000417C: D048002E 00026532
	v_add3_u32 v16, v50, v19, 1                                // 000000004184: D1FF0010 02062732
	v_cndmask_b32_e64 v4, v16, v18, s[46:47]                   // 00000000418C: D1000004 00BA2510
	v_cmp_u_f32_e64 s[46:47], v51, v51                         // 000000004194: D048002E 00026733
	v_add3_u32 v16, v51, v19, 1                                // 00000000419C: D1FF0010 02062733
	v_cndmask_b32_e64 v5, v16, v18, s[46:47]                   // 0000000041A4: D1000005 00BA2510
	v_perm_b32 v49, v5, v4, s52                                // 0000000041AC: D1ED0031 00D20905
	v_cmp_u_f32_e64 s[46:47], v52, v52                         // 0000000041B4: D048002E 00026934
	v_add3_u32 v16, v52, v19, 1                                // 0000000041BC: D1FF0010 02062734
	v_cndmask_b32_e64 v4, v16, v18, s[46:47]                   // 0000000041C4: D1000004 00BA2510
	v_cmp_u_f32_e64 s[46:47], v53, v53                         // 0000000041CC: D048002E 00026B35
	v_add3_u32 v16, v53, v19, 1                                // 0000000041D4: D1FF0010 02062735
	v_cndmask_b32_e64 v5, v16, v18, s[46:47]                   // 0000000041DC: D1000005 00BA2510
	v_perm_b32 v50, v5, v4, s52                                // 0000000041E4: D1ED0032 00D20905
	v_cmp_u_f32_e64 s[46:47], v54, v54                         // 0000000041EC: D048002E 00026D36
	v_add3_u32 v16, v54, v19, 1                                // 0000000041F4: D1FF0010 02062736
	v_cndmask_b32_e64 v4, v16, v18, s[46:47]                   // 0000000041FC: D1000004 00BA2510
	v_cmp_u_f32_e64 s[46:47], v55, v55                         // 000000004204: D048002E 00026F37
	v_add3_u32 v16, v55, v19, 1                                // 00000000420C: D1FF0010 02062737
	v_cndmask_b32_e64 v5, v16, v18, s[46:47]                   // 000000004214: D1000005 00BA2510
	v_perm_b32 v51, v5, v4, s52                                // 00000000421C: D1ED0033 00D20905
	v_cmp_u_f32_e64 s[46:47], v56, v56                         // 000000004224: D048002E 00027138
	v_add3_u32 v16, v56, v19, 1                                // 00000000422C: D1FF0010 02062738
	v_cndmask_b32_e64 v4, v16, v18, s[46:47]                   // 000000004234: D1000004 00BA2510
	v_cmp_u_f32_e64 s[46:47], v57, v57                         // 00000000423C: D048002E 00027339
	v_add3_u32 v16, v57, v19, 1                                // 000000004244: D1FF0010 02062739
	v_cndmask_b32_e64 v5, v16, v18, s[46:47]                   // 00000000424C: D1000005 00BA2510
	v_perm_b32 v52, v5, v4, s52                                // 000000004254: D1ED0034 00D20905
	v_cmp_u_f32_e64 s[46:47], v58, v58                         // 00000000425C: D048002E 0002753A
	v_add3_u32 v16, v58, v19, 1                                // 000000004264: D1FF0010 0206273A
	v_cndmask_b32_e64 v4, v16, v18, s[46:47]                   // 00000000426C: D1000004 00BA2510
	v_cmp_u_f32_e64 s[46:47], v59, v59                         // 000000004274: D048002E 0002773B
	v_add3_u32 v16, v59, v19, 1                                // 00000000427C: D1FF0010 0206273B
	v_cndmask_b32_e64 v5, v16, v18, s[46:47]                   // 000000004284: D1000005 00BA2510
	v_perm_b32 v53, v5, v4, s52                                // 00000000428C: D1ED0035 00D20905
	v_cmp_u_f32_e64 s[46:47], v60, v60                         // 000000004294: D048002E 0002793C
	v_add3_u32 v16, v60, v19, 1                                // 00000000429C: D1FF0010 0206273C
	v_cndmask_b32_e64 v4, v16, v18, s[46:47]                   // 0000000042A4: D1000004 00BA2510
	v_cmp_u_f32_e64 s[46:47], v61, v61                         // 0000000042AC: D048002E 00027B3D
	v_add3_u32 v16, v61, v19, 1                                // 0000000042B4: D1FF0010 0206273D
	v_cndmask_b32_e64 v5, v16, v18, s[46:47]                   // 0000000042BC: D1000005 00BA2510
	v_perm_b32 v54, v5, v4, s52                                // 0000000042C4: D1ED0036 00D20905
	v_cmp_u_f32_e64 s[46:47], v62, v62                         // 0000000042CC: D048002E 00027D3E
	v_add3_u32 v16, v62, v19, 1                                // 0000000042D4: D1FF0010 0206273E
	v_cndmask_b32_e64 v4, v16, v18, s[46:47]                   // 0000000042DC: D1000004 00BA2510
	v_cmp_u_f32_e64 s[46:47], v63, v63                         // 0000000042E4: D048002E 00027F3F
	v_add3_u32 v16, v63, v19, 1                                // 0000000042EC: D1FF0010 0206273F
	v_cndmask_b32_e64 v5, v16, v18, s[46:47]                   // 0000000042F4: D1000005 00BA2510
	v_perm_b32 v55, v5, v4, s52                                // 0000000042FC: D1ED0037 00D20905
	v_cmp_u_f32_e64 s[46:47], v64, v64                         // 000000004304: D048002E 00028140
	v_add3_u32 v16, v64, v19, 1                                // 00000000430C: D1FF0010 02062740
	v_cndmask_b32_e64 v4, v16, v18, s[46:47]                   // 000000004314: D1000004 00BA2510
	v_cmp_u_f32_e64 s[46:47], v65, v65                         // 00000000431C: D048002E 00028341
	v_add3_u32 v16, v65, v19, 1                                // 000000004324: D1FF0010 02062741
	v_cndmask_b32_e64 v5, v16, v18, s[46:47]                   // 00000000432C: D1000005 00BA2510
	v_perm_b32 v56, v5, v4, s52                                // 000000004334: D1ED0038 00D20905
	v_cmp_u_f32_e64 s[46:47], v66, v66                         // 00000000433C: D048002E 00028542
	v_add3_u32 v16, v66, v19, 1                                // 000000004344: D1FF0010 02062742
	v_cndmask_b32_e64 v4, v16, v18, s[46:47]                   // 00000000434C: D1000004 00BA2510
	v_cmp_u_f32_e64 s[46:47], v67, v67                         // 000000004354: D048002E 00028743
	v_add3_u32 v16, v67, v19, 1                                // 00000000435C: D1FF0010 02062743
	v_cndmask_b32_e64 v5, v16, v18, s[46:47]                   // 000000004364: D1000005 00BA2510
	v_perm_b32 v57, v5, v4, s52                                // 00000000436C: D1ED0039 00D20905
	v_cmp_u_f32_e64 s[46:47], v68, v68                         // 000000004374: D048002E 00028944
	v_add3_u32 v16, v68, v19, 1                                // 00000000437C: D1FF0010 02062744
	v_cndmask_b32_e64 v4, v16, v18, s[46:47]                   // 000000004384: D1000004 00BA2510
	v_cmp_u_f32_e64 s[46:47], v69, v69                         // 00000000438C: D048002E 00028B45
	v_add3_u32 v16, v69, v19, 1                                // 000000004394: D1FF0010 02062745
	v_cndmask_b32_e64 v5, v16, v18, s[46:47]                   // 00000000439C: D1000005 00BA2510
	v_perm_b32 v58, v5, v4, s52                                // 0000000043A4: D1ED003A 00D20905
	v_cmp_u_f32_e64 s[46:47], v70, v70                         // 0000000043AC: D048002E 00028D46
	v_add3_u32 v16, v70, v19, 1                                // 0000000043B4: D1FF0010 02062746
	v_cndmask_b32_e64 v4, v16, v18, s[46:47]                   // 0000000043BC: D1000004 00BA2510
	v_cmp_u_f32_e64 s[46:47], v71, v71                         // 0000000043C4: D048002E 00028F47
	v_add3_u32 v16, v71, v19, 1                                // 0000000043CC: D1FF0010 02062747
	v_cndmask_b32_e64 v5, v16, v18, s[46:47]                   // 0000000043D4: D1000005 00BA2510
	v_perm_b32 v59, v5, v4, s52                                // 0000000043DC: D1ED003B 00D20905
	ds_write_b64 v20, v[48:49]                                 // 0000000043E4: D89A0000 00003014
	ds_write_b64 v20, v[50:51] offset:4352                     // 0000000043EC: D89A1100 00003214
	ds_write_b64 v20, v[52:53] offset:8704                     // 0000000043F4: D89A2200 00003414
	ds_write_b64 v20, v[54:55] offset:2176                     // 0000000043FC: D89A0880 00003614
	ds_write_b64 v20, v[56:57] offset:6528                     // 000000004404: D89A1980 00003814
	ds_write_b64 v20, v[58:59] offset:10880                    // 00000000440C: D89A2A80 00003A14
	v_lshrrev_b32_e32 v4, 5, v0                                // 000000004414: 20080085
	v_xor_b32_e32 v5, 1, v4                                    // 000000004418: 2A0A0881
	s_mul_i32 s60, s65, 2                                      // 00000000441C: 923C8241
	s_cmp_eq_u32 s88, 0                                        // 000000004420: BF068058
	s_cselect_b32 s61, 1, 4                                    // 000000004424: 853D8481
	s_mul_i32 s60, s61, s60                                    // 000000004428: 923C3C3D
	v_readlane_b32 s82, v3, 0                                  // 00000000442C: D2890052 00010103
	s_lshr_b32 s61, s82, 24                                    // 000000004434: 8F3D9852
	s_and_b32 s82, s82, 0xffffff                               // 000000004438: 8652FF52 00FFFFFF
	s_mul_i32 s82, s82, s71                                    // 000000004440: 92524752
	s_mul_i32 s61, s60, s61                                    // 000000004444: 923D3D3C
	s_add_u32 s82, s82, s61                                    // 000000004448: 80523D52
	v_mul_lo_u32 v6, v5, s82                                   // 00000000444C: D2850006 0000A505
	v_readlane_b32 s82, v3, 1                                  // 000000004454: D2890052 00010303
	s_lshr_b32 s61, s82, 24                                    // 00000000445C: 8F3D9852
	s_and_b32 s82, s82, 0xffffff                               // 000000004460: 8652FF52 00FFFFFF
	s_mul_i32 s82, s82, s71                                    // 000000004468: 92524752
	s_mul_i32 s61, s60, s61                                    // 00000000446C: 923D3D3C
	s_add_u32 s82, s82, s61                                    // 000000004470: 80523D52
	v_mul_lo_u32 v7, v4, s82                                   // 000000004474: D2850007 0000A504
	v_add_u32_e32 v40, v6, v7                                  // 00000000447C: 68500F06
	v_readlane_b32 s82, v3, 2                                  // 000000004480: D2890052 00010503
	s_lshr_b32 s61, s82, 24                                    // 000000004488: 8F3D9852
	s_and_b32 s82, s82, 0xffffff                               // 00000000448C: 8652FF52 00FFFFFF
	s_mul_i32 s82, s82, s71                                    // 000000004494: 92524752
	s_mul_i32 s61, s60, s61                                    // 000000004498: 923D3D3C
	s_add_u32 s82, s82, s61                                    // 00000000449C: 80523D52
	v_mul_lo_u32 v6, v5, s82                                   // 0000000044A0: D2850006 0000A505
	v_readlane_b32 s82, v3, 3                                  // 0000000044A8: D2890052 00010703
	s_lshr_b32 s61, s82, 24                                    // 0000000044B0: 8F3D9852
	s_and_b32 s82, s82, 0xffffff                               // 0000000044B4: 8652FF52 00FFFFFF
	s_mul_i32 s82, s82, s71                                    // 0000000044BC: 92524752
	s_mul_i32 s61, s60, s61                                    // 0000000044C0: 923D3D3C
	s_add_u32 s82, s82, s61                                    // 0000000044C4: 80523D52
	v_mul_lo_u32 v7, v4, s82                                   // 0000000044C8: D2850007 0000A504
	v_add_u32_e32 v41, v6, v7                                  // 0000000044D0: 68520F06
	v_readlane_b32 s82, v3, 4                                  // 0000000044D4: D2890052 00010903
	s_lshr_b32 s61, s82, 24                                    // 0000000044DC: 8F3D9852
	s_and_b32 s82, s82, 0xffffff                               // 0000000044E0: 8652FF52 00FFFFFF
	s_mul_i32 s82, s82, s71                                    // 0000000044E8: 92524752
	s_mul_i32 s61, s60, s61                                    // 0000000044EC: 923D3D3C
	s_add_u32 s82, s82, s61                                    // 0000000044F0: 80523D52
	v_mul_lo_u32 v6, v5, s82                                   // 0000000044F4: D2850006 0000A505
	v_readlane_b32 s82, v3, 5                                  // 0000000044FC: D2890052 00010B03
	s_lshr_b32 s61, s82, 24                                    // 000000004504: 8F3D9852
	s_and_b32 s82, s82, 0xffffff                               // 000000004508: 8652FF52 00FFFFFF
	s_mul_i32 s82, s82, s71                                    // 000000004510: 92524752
	s_mul_i32 s61, s60, s61                                    // 000000004514: 923D3D3C
	s_add_u32 s82, s82, s61                                    // 000000004518: 80523D52
	v_mul_lo_u32 v7, v4, s82                                   // 00000000451C: D2850007 0000A504
	v_add_u32_e32 v42, v6, v7                                  // 000000004524: 68540F06
	v_readlane_b32 s82, v3, 6                                  // 000000004528: D2890052 00010D03
	s_lshr_b32 s61, s82, 24                                    // 000000004530: 8F3D9852
	s_and_b32 s82, s82, 0xffffff                               // 000000004534: 8652FF52 00FFFFFF
	s_mul_i32 s82, s82, s71                                    // 00000000453C: 92524752
	s_mul_i32 s61, s60, s61                                    // 000000004540: 923D3D3C
	s_add_u32 s82, s82, s61                                    // 000000004544: 80523D52
	v_mul_lo_u32 v6, v5, s82                                   // 000000004548: D2850006 0000A505
	v_readlane_b32 s82, v3, 7                                  // 000000004550: D2890052 00010F03
	s_lshr_b32 s61, s82, 24                                    // 000000004558: 8F3D9852
	s_and_b32 s82, s82, 0xffffff                               // 00000000455C: 8652FF52 00FFFFFF
	s_mul_i32 s82, s82, s71                                    // 000000004564: 92524752
	s_mul_i32 s61, s60, s61                                    // 000000004568: 923D3D3C
	s_add_u32 s82, s82, s61                                    // 00000000456C: 80523D52
	v_mul_lo_u32 v7, v4, s82                                   // 000000004570: D2850007 0000A504
	v_add_u32_e32 v43, v6, v7                                  // 000000004578: 68560F06
	v_readlane_b32 s82, v3, 8                                  // 00000000457C: D2890052 00011103
	s_lshr_b32 s61, s82, 24                                    // 000000004584: 8F3D9852
	s_and_b32 s82, s82, 0xffffff                               // 000000004588: 8652FF52 00FFFFFF
	s_mul_i32 s82, s82, s71                                    // 000000004590: 92524752
	s_mul_i32 s61, s60, s61                                    // 000000004594: 923D3D3C
	s_add_u32 s82, s82, s61                                    // 000000004598: 80523D52
	v_mul_lo_u32 v6, v5, s82                                   // 00000000459C: D2850006 0000A505
	v_readlane_b32 s82, v3, 9                                  // 0000000045A4: D2890052 00011303
	s_lshr_b32 s61, s82, 24                                    // 0000000045AC: 8F3D9852
	s_and_b32 s82, s82, 0xffffff                               // 0000000045B0: 8652FF52 00FFFFFF
	s_mul_i32 s82, s82, s71                                    // 0000000045B8: 92524752
	s_mul_i32 s61, s60, s61                                    // 0000000045BC: 923D3D3C
	s_add_u32 s82, s82, s61                                    // 0000000045C0: 80523D52
	v_mul_lo_u32 v7, v4, s82                                   // 0000000045C4: D2850007 0000A504
	v_add_u32_e32 v44, v6, v7                                  // 0000000045CC: 68580F06
	v_readlane_b32 s82, v3, 10                                 // 0000000045D0: D2890052 00011503
	s_lshr_b32 s61, s82, 24                                    // 0000000045D8: 8F3D9852
	s_and_b32 s82, s82, 0xffffff                               // 0000000045DC: 8652FF52 00FFFFFF
	s_mul_i32 s82, s82, s71                                    // 0000000045E4: 92524752
	s_mul_i32 s61, s60, s61                                    // 0000000045E8: 923D3D3C
	s_add_u32 s82, s82, s61                                    // 0000000045EC: 80523D52
	v_mul_lo_u32 v6, v5, s82                                   // 0000000045F0: D2850006 0000A505
	v_readlane_b32 s82, v3, 11                                 // 0000000045F8: D2890052 00011703
	s_lshr_b32 s61, s82, 24                                    // 000000004600: 8F3D9852
	s_and_b32 s82, s82, 0xffffff                               // 000000004604: 8652FF52 00FFFFFF
	s_mul_i32 s82, s82, s71                                    // 00000000460C: 92524752
	s_mul_i32 s61, s60, s61                                    // 000000004610: 923D3D3C
	s_add_u32 s82, s82, s61                                    // 000000004614: 80523D52
	v_mul_lo_u32 v7, v4, s82                                   // 000000004618: D2850007 0000A504
	v_add_u32_e32 v45, v6, v7                                  // 000000004620: 685A0F06
	v_and_b32_e32 v4, 31, v0                                   // 000000004624: 2608009F
	v_lshrrev_b32_e32 v4, 1, v4                                // 000000004628: 20080881
	s_cmp_eq_u32 s88, 0                                        // 00000000462C: BF068058
	s_cselect_b32 s61, 2, 4                                    // 000000004630: 853D8482
	v_mul_lo_u32 v4, v4, s61                                   // 000000004634: D2850004 00007B04
	v_and_b32_e64 v5, v0, 1                                    // 00000000463C: D1130005 00010300
	v_add_u32_e32 v4, v4, v5                                   // 000000004644: 68080B04
	v_lshlrev_b32_e32 v4, 2, v4                                // 000000004648: 24080882
	v_add_u32_e32 v40, v40, v4                                 // 00000000464C: 68500928
	v_add_u32_e32 v41, v41, v4                                 // 000000004650: 68520929
	v_add_u32_e32 v42, v42, v4                                 // 000000004654: 6854092A
	v_add_u32_e32 v43, v43, v4                                 // 000000004658: 6856092B
	v_add_u32_e32 v44, v44, v4                                 // 00000000465C: 6858092C
	v_add_u32_e32 v45, v45, v4                                 // 000000004660: 685A092D
	s_waitcnt lgkmcnt(0)                                       // 000000004664: BF8CC07F
	s_barrier                                                  // 000000004668: BF8A0000
	ds_read_b32 v48, v21                                       // 00000000466C: D86C0000 30000015
	ds_read_b32 v49, v21 offset:64                             // 000000004674: D86C0040 31000015
	ds_read_b32 v50, v21 offset:2176                           // 00000000467C: D86C0880 32000015
	ds_read_b32 v51, v21 offset:2240                           // 000000004684: D86C08C0 33000015
	ds_read_b32 v52, v21 offset:4352                           // 00000000468C: D86C1100 34000015
	ds_read_b32 v53, v21 offset:4416                           // 000000004694: D86C1140 35000015
	ds_read_b32 v54, v21 offset:6528                           // 00000000469C: D86C1980 36000015
	ds_read_b32 v55, v21 offset:6592                           // 0000000046A4: D86C19C0 37000015
	ds_read_b32 v56, v21 offset:8704                           // 0000000046AC: D86C2200 38000015
	ds_read_b32 v57, v21 offset:8768                           // 0000000046B4: D86C2240 39000015
	ds_read_b32 v58, v21 offset:10880                          // 0000000046BC: D86C2A80 3A000015
	ds_read_b32 v59, v21 offset:10944                          // 0000000046C4: D86C2AC0 3B000015
	s_waitcnt lgkmcnt(0)                                       // 0000000046CC: BF8CC07F
	s_mov_b32 s36, -1                                          // 0000000046D0: BEA400C1
	s_mov_b32 s37, -1                                          // 0000000046D4: BEA500C1
	v_mov_b32_e32 v7, 0                                        // 0000000046D8: 7E0E0280
	s_or_b32 s9, s9, 0x40000                                   // 0000000046DC: 8709FF09 00040000
	s_mov_b64 exec, s[36:37]                                   // 0000000046E4: BEFE0124
	v_mov_b32_e32 v6, v40                                      // 0000000046E8: 7E0C0328
	s_mov_b64 s[60:61], 0                                      // 0000000046EC: BEBC0180
	v_readlane_b32 s82, v3, 0                                  // 0000000046F0: D2890052 00010103
	s_and_b32 s82, s82, 0xffffff                               // 0000000046F8: 8652FF52 00FFFFFF
	s_cmp_lt_u32 s82, s66                                      // 000000004700: BF0A4252
	s_cselect_b32 s20, s36, s60                                // 000000004704: 85143C24
	v_readlane_b32 s82, v3, 1                                  // 000000004708: D2890052 00010303
	s_and_b32 s82, s82, 0xffffff                               // 000000004710: 8652FF52 00FFFFFF
	s_cmp_lt_u32 s82, s66                                      // 000000004718: BF0A4252
	s_cselect_b32 s21, s36, s60                                // 00000000471C: 85153C24
	s_mov_b64 exec, s[20:21]                                   // 000000004720: BEFE0114
	buffer_store_dword v48, v6, s[8:11], 0 offen               // 000000004724: E0701000 80023006
	buffer_store_dword v50, v6, s[8:11], 0 offen offset:128    // 00000000472C: E0701080 80023206
	s_mov_b64 exec, s[36:37]                                   // 000000004734: BEFE0124
	v_mov_b32_e32 v6, v41                                      // 000000004738: 7E0C0329
	s_mov_b64 s[60:61], 0                                      // 00000000473C: BEBC0180
	v_readlane_b32 s82, v3, 2                                  // 000000004740: D2890052 00010503
	s_and_b32 s82, s82, 0xffffff                               // 000000004748: 8652FF52 00FFFFFF
	s_cmp_lt_u32 s82, s66                                      // 000000004750: BF0A4252
	s_cselect_b32 s20, s36, s60                                // 000000004754: 85143C24
	v_readlane_b32 s82, v3, 3                                  // 000000004758: D2890052 00010703
	s_and_b32 s82, s82, 0xffffff                               // 000000004760: 8652FF52 00FFFFFF
	s_cmp_lt_u32 s82, s66                                      // 000000004768: BF0A4252
	s_cselect_b32 s21, s36, s60                                // 00000000476C: 85153C24
	s_mov_b64 exec, s[20:21]                                   // 000000004770: BEFE0114
	buffer_store_dword v49, v6, s[8:11], 0 offen               // 000000004774: E0701000 80023106
	buffer_store_dword v51, v6, s[8:11], 0 offen offset:128    // 00000000477C: E0701080 80023306
	s_mov_b64 exec, s[36:37]                                   // 000000004784: BEFE0124
	v_mov_b32_e32 v6, v42                                      // 000000004788: 7E0C032A
	s_mov_b64 s[60:61], 0                                      // 00000000478C: BEBC0180
	v_readlane_b32 s82, v3, 4                                  // 000000004790: D2890052 00010903
	s_and_b32 s82, s82, 0xffffff                               // 000000004798: 8652FF52 00FFFFFF
	s_cmp_lt_u32 s82, s66                                      // 0000000047A0: BF0A4252
	s_cselect_b32 s20, s36, s60                                // 0000000047A4: 85143C24
	v_readlane_b32 s82, v3, 5                                  // 0000000047A8: D2890052 00010B03
	s_and_b32 s82, s82, 0xffffff                               // 0000000047B0: 8652FF52 00FFFFFF
	s_cmp_lt_u32 s82, s66                                      // 0000000047B8: BF0A4252
	s_cselect_b32 s21, s36, s60                                // 0000000047BC: 85153C24
	s_mov_b64 exec, s[20:21]                                   // 0000000047C0: BEFE0114
	buffer_store_dword v52, v6, s[8:11], 0 offen               // 0000000047C4: E0701000 80023406
	buffer_store_dword v54, v6, s[8:11], 0 offen offset:128    // 0000000047CC: E0701080 80023606
	s_mov_b64 exec, s[36:37]                                   // 0000000047D4: BEFE0124
	v_mov_b32_e32 v6, v43                                      // 0000000047D8: 7E0C032B
	s_mov_b64 s[60:61], 0                                      // 0000000047DC: BEBC0180
	v_readlane_b32 s82, v3, 6                                  // 0000000047E0: D2890052 00010D03
	s_and_b32 s82, s82, 0xffffff                               // 0000000047E8: 8652FF52 00FFFFFF
	s_cmp_lt_u32 s82, s66                                      // 0000000047F0: BF0A4252
	s_cselect_b32 s20, s36, s60                                // 0000000047F4: 85143C24
	v_readlane_b32 s82, v3, 7                                  // 0000000047F8: D2890052 00010F03
	s_and_b32 s82, s82, 0xffffff                               // 000000004800: 8652FF52 00FFFFFF
	s_cmp_lt_u32 s82, s66                                      // 000000004808: BF0A4252
	s_cselect_b32 s21, s36, s60                                // 00000000480C: 85153C24
	s_mov_b64 exec, s[20:21]                                   // 000000004810: BEFE0114
	buffer_store_dword v53, v6, s[8:11], 0 offen               // 000000004814: E0701000 80023506
	buffer_store_dword v55, v6, s[8:11], 0 offen offset:128    // 00000000481C: E0701080 80023706
	s_mov_b64 exec, s[36:37]                                   // 000000004824: BEFE0124
	v_mov_b32_e32 v6, v44                                      // 000000004828: 7E0C032C
	s_mov_b64 s[60:61], 0                                      // 00000000482C: BEBC0180
	v_readlane_b32 s82, v3, 8                                  // 000000004830: D2890052 00011103
	s_and_b32 s82, s82, 0xffffff                               // 000000004838: 8652FF52 00FFFFFF
	s_cmp_lt_u32 s82, s66                                      // 000000004840: BF0A4252
	s_cselect_b32 s20, s36, s60                                // 000000004844: 85143C24
	v_readlane_b32 s82, v3, 9                                  // 000000004848: D2890052 00011303
	s_and_b32 s82, s82, 0xffffff                               // 000000004850: 8652FF52 00FFFFFF
	s_cmp_lt_u32 s82, s66                                      // 000000004858: BF0A4252
	s_cselect_b32 s21, s36, s60                                // 00000000485C: 85153C24
	s_mov_b64 exec, s[20:21]                                   // 000000004860: BEFE0114
	buffer_store_dword v56, v6, s[8:11], 0 offen               // 000000004864: E0701000 80023806
	buffer_store_dword v58, v6, s[8:11], 0 offen offset:128    // 00000000486C: E0701080 80023A06
	s_mov_b64 exec, s[36:37]                                   // 000000004874: BEFE0124
	v_mov_b32_e32 v6, v45                                      // 000000004878: 7E0C032D
	s_mov_b64 s[60:61], 0                                      // 00000000487C: BEBC0180
	v_readlane_b32 s82, v3, 10                                 // 000000004880: D2890052 00011503
	s_and_b32 s82, s82, 0xffffff                               // 000000004888: 8652FF52 00FFFFFF
	s_cmp_lt_u32 s82, s66                                      // 000000004890: BF0A4252
	s_cselect_b32 s20, s36, s60                                // 000000004894: 85143C24
	v_readlane_b32 s82, v3, 11                                 // 000000004898: D2890052 00011703
	s_and_b32 s82, s82, 0xffffff                               // 0000000048A0: 8652FF52 00FFFFFF
	s_cmp_lt_u32 s82, s66                                      // 0000000048A8: BF0A4252
	s_cselect_b32 s21, s36, s60                                // 0000000048AC: 85153C24
	s_mov_b64 exec, s[20:21]                                   // 0000000048B0: BEFE0114
	buffer_store_dword v57, v6, s[8:11], 0 offen               // 0000000048B4: E0701000 80023906
	buffer_store_dword v59, v6, s[8:11], 0 offen offset:128    // 0000000048BC: E0701080 80023B06
	s_mov_b64 exec, s[36:37]                                   // 0000000048C4: BEFE0124
	s_branch label_137F                                        // 0000000048C8: BF820BC9

00000000000048cc <label_07B3>:
	ds_write_b64 v20, v[48:49]                                 // 0000000048CC: D89A0000 00003014
	ds_write_b64 v20, v[52:53] offset:4352                     // 0000000048D4: D89A1100 00003414
	ds_write_b64 v20, v[56:57] offset:8704                     // 0000000048DC: D89A2200 00003814
	ds_write_b64 v20, v[60:61] offset:2176                     // 0000000048E4: D89A0880 00003C14
	ds_write_b64 v20, v[64:65] offset:6528                     // 0000000048EC: D89A1980 00004014
	ds_write_b64 v20, v[68:69] offset:10880                    // 0000000048F4: D89A2A80 00004414
	v_lshrrev_b32_e32 v4, 5, v0                                // 0000000048FC: 20080085
	v_xor_b32_e32 v5, 1, v4                                    // 000000004900: 2A0A0881
	s_mul_i32 s60, s65, 2                                      // 000000004904: 923C8241
	s_cmp_eq_u32 s88, 0                                        // 000000004908: BF068058
	s_cselect_b32 s61, 1, 4                                    // 00000000490C: 853D8481
	s_mul_i32 s60, s61, s60                                    // 000000004910: 923C3C3D
	v_readlane_b32 s82, v3, 0                                  // 000000004914: D2890052 00010103
	s_lshr_b32 s61, s82, 24                                    // 00000000491C: 8F3D9852
	s_and_b32 s82, s82, 0xffffff                               // 000000004920: 8652FF52 00FFFFFF
	s_mul_i32 s82, s82, s71                                    // 000000004928: 92524752
	s_mul_i32 s61, s60, s61                                    // 00000000492C: 923D3D3C
	s_add_u32 s82, s82, s61                                    // 000000004930: 80523D52
	v_mul_lo_u32 v6, v5, s82                                   // 000000004934: D2850006 0000A505
	v_readlane_b32 s82, v3, 1                                  // 00000000493C: D2890052 00010303
	s_lshr_b32 s61, s82, 24                                    // 000000004944: 8F3D9852
	s_and_b32 s82, s82, 0xffffff                               // 000000004948: 8652FF52 00FFFFFF
	s_mul_i32 s82, s82, s71                                    // 000000004950: 92524752
	s_mul_i32 s61, s60, s61                                    // 000000004954: 923D3D3C
	s_add_u32 s82, s82, s61                                    // 000000004958: 80523D52
	v_mul_lo_u32 v7, v4, s82                                   // 00000000495C: D2850007 0000A504
	v_add_u32_e32 v40, v6, v7                                  // 000000004964: 68500F06
	v_readlane_b32 s82, v3, 2                                  // 000000004968: D2890052 00010503
	s_lshr_b32 s61, s82, 24                                    // 000000004970: 8F3D9852
	s_and_b32 s82, s82, 0xffffff                               // 000000004974: 8652FF52 00FFFFFF
	s_mul_i32 s82, s82, s71                                    // 00000000497C: 92524752
	s_mul_i32 s61, s60, s61                                    // 000000004980: 923D3D3C
	s_add_u32 s82, s82, s61                                    // 000000004984: 80523D52
	v_mul_lo_u32 v6, v5, s82                                   // 000000004988: D2850006 0000A505
	v_readlane_b32 s82, v3, 3                                  // 000000004990: D2890052 00010703
	s_lshr_b32 s61, s82, 24                                    // 000000004998: 8F3D9852
	s_and_b32 s82, s82, 0xffffff                               // 00000000499C: 8652FF52 00FFFFFF
	s_mul_i32 s82, s82, s71                                    // 0000000049A4: 92524752
	s_mul_i32 s61, s60, s61                                    // 0000000049A8: 923D3D3C
	s_add_u32 s82, s82, s61                                    // 0000000049AC: 80523D52
	v_mul_lo_u32 v7, v4, s82                                   // 0000000049B0: D2850007 0000A504
	v_add_u32_e32 v41, v6, v7                                  // 0000000049B8: 68520F06
	v_readlane_b32 s82, v3, 4                                  // 0000000049BC: D2890052 00010903
	s_lshr_b32 s61, s82, 24                                    // 0000000049C4: 8F3D9852
	s_and_b32 s82, s82, 0xffffff                               // 0000000049C8: 8652FF52 00FFFFFF
	s_mul_i32 s82, s82, s71                                    // 0000000049D0: 92524752
	s_mul_i32 s61, s60, s61                                    // 0000000049D4: 923D3D3C
	s_add_u32 s82, s82, s61                                    // 0000000049D8: 80523D52
	v_mul_lo_u32 v6, v5, s82                                   // 0000000049DC: D2850006 0000A505
	v_readlane_b32 s82, v3, 5                                  // 0000000049E4: D2890052 00010B03
	s_lshr_b32 s61, s82, 24                                    // 0000000049EC: 8F3D9852
	s_and_b32 s82, s82, 0xffffff                               // 0000000049F0: 8652FF52 00FFFFFF
	s_mul_i32 s82, s82, s71                                    // 0000000049F8: 92524752
	s_mul_i32 s61, s60, s61                                    // 0000000049FC: 923D3D3C
	s_add_u32 s82, s82, s61                                    // 000000004A00: 80523D52
	v_mul_lo_u32 v7, v4, s82                                   // 000000004A04: D2850007 0000A504
	v_add_u32_e32 v42, v6, v7                                  // 000000004A0C: 68540F06
	v_readlane_b32 s82, v3, 6                                  // 000000004A10: D2890052 00010D03
	s_lshr_b32 s61, s82, 24                                    // 000000004A18: 8F3D9852
	s_and_b32 s82, s82, 0xffffff                               // 000000004A1C: 8652FF52 00FFFFFF
	s_mul_i32 s82, s82, s71                                    // 000000004A24: 92524752
	s_mul_i32 s61, s60, s61                                    // 000000004A28: 923D3D3C
	s_add_u32 s82, s82, s61                                    // 000000004A2C: 80523D52
	v_mul_lo_u32 v6, v5, s82                                   // 000000004A30: D2850006 0000A505
	v_readlane_b32 s82, v3, 7                                  // 000000004A38: D2890052 00010F03
	s_lshr_b32 s61, s82, 24                                    // 000000004A40: 8F3D9852
	s_and_b32 s82, s82, 0xffffff                               // 000000004A44: 8652FF52 00FFFFFF
	s_mul_i32 s82, s82, s71                                    // 000000004A4C: 92524752
	s_mul_i32 s61, s60, s61                                    // 000000004A50: 923D3D3C
	s_add_u32 s82, s82, s61                                    // 000000004A54: 80523D52
	v_mul_lo_u32 v7, v4, s82                                   // 000000004A58: D2850007 0000A504
	v_add_u32_e32 v43, v6, v7                                  // 000000004A60: 68560F06
	v_readlane_b32 s82, v3, 8                                  // 000000004A64: D2890052 00011103
	s_lshr_b32 s61, s82, 24                                    // 000000004A6C: 8F3D9852
	s_and_b32 s82, s82, 0xffffff                               // 000000004A70: 8652FF52 00FFFFFF
	s_mul_i32 s82, s82, s71                                    // 000000004A78: 92524752
	s_mul_i32 s61, s60, s61                                    // 000000004A7C: 923D3D3C
	s_add_u32 s82, s82, s61                                    // 000000004A80: 80523D52
	v_mul_lo_u32 v6, v5, s82                                   // 000000004A84: D2850006 0000A505
	v_readlane_b32 s82, v3, 9                                  // 000000004A8C: D2890052 00011303
	s_lshr_b32 s61, s82, 24                                    // 000000004A94: 8F3D9852
	s_and_b32 s82, s82, 0xffffff                               // 000000004A98: 8652FF52 00FFFFFF
	s_mul_i32 s82, s82, s71                                    // 000000004AA0: 92524752
	s_mul_i32 s61, s60, s61                                    // 000000004AA4: 923D3D3C
	s_add_u32 s82, s82, s61                                    // 000000004AA8: 80523D52
	v_mul_lo_u32 v7, v4, s82                                   // 000000004AAC: D2850007 0000A504
	v_add_u32_e32 v44, v6, v7                                  // 000000004AB4: 68580F06
	v_readlane_b32 s82, v3, 10                                 // 000000004AB8: D2890052 00011503
	s_lshr_b32 s61, s82, 24                                    // 000000004AC0: 8F3D9852
	s_and_b32 s82, s82, 0xffffff                               // 000000004AC4: 8652FF52 00FFFFFF
	s_mul_i32 s82, s82, s71                                    // 000000004ACC: 92524752
	s_mul_i32 s61, s60, s61                                    // 000000004AD0: 923D3D3C
	s_add_u32 s82, s82, s61                                    // 000000004AD4: 80523D52
	v_mul_lo_u32 v6, v5, s82                                   // 000000004AD8: D2850006 0000A505
	v_readlane_b32 s82, v3, 11                                 // 000000004AE0: D2890052 00011703
	s_lshr_b32 s61, s82, 24                                    // 000000004AE8: 8F3D9852
	s_and_b32 s82, s82, 0xffffff                               // 000000004AEC: 8652FF52 00FFFFFF
	s_mul_i32 s82, s82, s71                                    // 000000004AF4: 92524752
	s_mul_i32 s61, s60, s61                                    // 000000004AF8: 923D3D3C
	s_add_u32 s82, s82, s61                                    // 000000004AFC: 80523D52
	v_mul_lo_u32 v7, v4, s82                                   // 000000004B00: D2850007 0000A504
	v_add_u32_e32 v45, v6, v7                                  // 000000004B08: 685A0F06
	v_and_b32_e32 v4, 31, v0                                   // 000000004B0C: 2608009F
	v_lshrrev_b32_e32 v4, 1, v4                                // 000000004B10: 20080881
	s_cmp_eq_u32 s88, 0                                        // 000000004B14: BF068058
	s_cselect_b32 s61, 2, 4                                    // 000000004B18: 853D8482
	v_mul_lo_u32 v4, v4, s61                                   // 000000004B1C: D2850004 00007B04
	v_and_b32_e64 v5, v0, 1                                    // 000000004B24: D1130005 00010300
	v_add_u32_e32 v4, v4, v5                                   // 000000004B2C: 68080B04
	v_lshlrev_b32_e32 v4, 2, v4                                // 000000004B30: 24080882
	v_add_u32_e32 v40, v40, v4                                 // 000000004B34: 68500928
	v_add_u32_e32 v41, v41, v4                                 // 000000004B38: 68520929
	v_add_u32_e32 v42, v42, v4                                 // 000000004B3C: 6854092A
	v_add_u32_e32 v43, v43, v4                                 // 000000004B40: 6856092B
	v_add_u32_e32 v44, v44, v4                                 // 000000004B44: 6858092C
	v_add_u32_e32 v45, v45, v4                                 // 000000004B48: 685A092D
	s_waitcnt lgkmcnt(0)                                       // 000000004B4C: BF8CC07F
	s_barrier                                                  // 000000004B50: BF8A0000
	ds_read_b32 v48, v21                                       // 000000004B54: D86C0000 30000015
	ds_read_b32 v49, v21 offset:64                             // 000000004B5C: D86C0040 31000015
	ds_read_b32 v52, v21 offset:2176                           // 000000004B64: D86C0880 34000015
	ds_read_b32 v53, v21 offset:2240                           // 000000004B6C: D86C08C0 35000015
	ds_read_b32 v56, v21 offset:4352                           // 000000004B74: D86C1100 38000015
	ds_read_b32 v57, v21 offset:4416                           // 000000004B7C: D86C1140 39000015
	ds_read_b32 v60, v21 offset:6528                           // 000000004B84: D86C1980 3C000015
	ds_read_b32 v61, v21 offset:6592                           // 000000004B8C: D86C19C0 3D000015
	ds_read_b32 v64, v21 offset:8704                           // 000000004B94: D86C2200 40000015
	ds_read_b32 v65, v21 offset:8768                           // 000000004B9C: D86C2240 41000015
	ds_read_b32 v68, v21 offset:10880                          // 000000004BA4: D86C2A80 44000015
	ds_read_b32 v69, v21 offset:10944                          // 000000004BAC: D86C2AC0 45000015
	s_waitcnt lgkmcnt(0)                                       // 000000004BB4: BF8CC07F
	s_mov_b32 s36, -1                                          // 000000004BB8: BEA400C1
	s_mov_b32 s37, -1                                          // 000000004BBC: BEA500C1
	v_mov_b32_e32 v7, 0                                        // 000000004BC0: 7E0E0280
	s_mov_b64 exec, s[36:37]                                   // 000000004BC4: BEFE0124
	v_mov_b32_e32 v6, v40                                      // 000000004BC8: 7E0C0328
	s_mov_b64 s[60:61], 0                                      // 000000004BCC: BEBC0180
	v_readlane_b32 s82, v3, 0                                  // 000000004BD0: D2890052 00010103
	s_and_b32 s82, s82, 0xffffff                               // 000000004BD8: 8652FF52 00FFFFFF
	s_cmp_lt_u32 s82, s66                                      // 000000004BE0: BF0A4252
	s_cselect_b32 s20, s36, s60                                // 000000004BE4: 85143C24
	v_readlane_b32 s82, v3, 1                                  // 000000004BE8: D2890052 00010303
	s_and_b32 s82, s82, 0xffffff                               // 000000004BF0: 8652FF52 00FFFFFF
	s_cmp_lt_u32 s82, s66                                      // 000000004BF8: BF0A4252
	s_cselect_b32 s21, s36, s60                                // 000000004BFC: 85153C24
	s_mov_b64 exec, s[20:21]                                   // 000000004C00: BEFE0114
	global_atomic_add_f32 v6, v48, s[8:9]                      // 000000004C04: DD348000 00083006
	global_atomic_add_f32 v6, v52, s[8:9] offset:256           // 000000004C0C: DD348100 00083406
	s_mov_b64 exec, s[36:37]                                   // 000000004C14: BEFE0124
	v_mov_b32_e32 v6, v41                                      // 000000004C18: 7E0C0329
	s_mov_b64 s[60:61], 0                                      // 000000004C1C: BEBC0180
	v_readlane_b32 s82, v3, 2                                  // 000000004C20: D2890052 00010503
	s_and_b32 s82, s82, 0xffffff                               // 000000004C28: 8652FF52 00FFFFFF
	s_cmp_lt_u32 s82, s66                                      // 000000004C30: BF0A4252
	s_cselect_b32 s20, s36, s60                                // 000000004C34: 85143C24
	v_readlane_b32 s82, v3, 3                                  // 000000004C38: D2890052 00010703
	s_and_b32 s82, s82, 0xffffff                               // 000000004C40: 8652FF52 00FFFFFF
	s_cmp_lt_u32 s82, s66                                      // 000000004C48: BF0A4252
	s_cselect_b32 s21, s36, s60                                // 000000004C4C: 85153C24
	s_mov_b64 exec, s[20:21]                                   // 000000004C50: BEFE0114
	global_atomic_add_f32 v6, v49, s[8:9]                      // 000000004C54: DD348000 00083106
	global_atomic_add_f32 v6, v53, s[8:9] offset:256           // 000000004C5C: DD348100 00083506
	s_mov_b64 exec, s[36:37]                                   // 000000004C64: BEFE0124
	v_mov_b32_e32 v6, v42                                      // 000000004C68: 7E0C032A
	s_mov_b64 s[60:61], 0                                      // 000000004C6C: BEBC0180
	v_readlane_b32 s82, v3, 4                                  // 000000004C70: D2890052 00010903
	s_and_b32 s82, s82, 0xffffff                               // 000000004C78: 8652FF52 00FFFFFF
	s_cmp_lt_u32 s82, s66                                      // 000000004C80: BF0A4252
	s_cselect_b32 s20, s36, s60                                // 000000004C84: 85143C24
	v_readlane_b32 s82, v3, 5                                  // 000000004C88: D2890052 00010B03
	s_and_b32 s82, s82, 0xffffff                               // 000000004C90: 8652FF52 00FFFFFF
	s_cmp_lt_u32 s82, s66                                      // 000000004C98: BF0A4252
	s_cselect_b32 s21, s36, s60                                // 000000004C9C: 85153C24
	s_mov_b64 exec, s[20:21]                                   // 000000004CA0: BEFE0114
	global_atomic_add_f32 v6, v56, s[8:9]                      // 000000004CA4: DD348000 00083806
	global_atomic_add_f32 v6, v60, s[8:9] offset:256           // 000000004CAC: DD348100 00083C06
	s_mov_b64 exec, s[36:37]                                   // 000000004CB4: BEFE0124
	v_mov_b32_e32 v6, v43                                      // 000000004CB8: 7E0C032B
	s_mov_b64 s[60:61], 0                                      // 000000004CBC: BEBC0180
	v_readlane_b32 s82, v3, 6                                  // 000000004CC0: D2890052 00010D03
	s_and_b32 s82, s82, 0xffffff                               // 000000004CC8: 8652FF52 00FFFFFF
	s_cmp_lt_u32 s82, s66                                      // 000000004CD0: BF0A4252
	s_cselect_b32 s20, s36, s60                                // 000000004CD4: 85143C24
	v_readlane_b32 s82, v3, 7                                  // 000000004CD8: D2890052 00010F03
	s_and_b32 s82, s82, 0xffffff                               // 000000004CE0: 8652FF52 00FFFFFF
	s_cmp_lt_u32 s82, s66                                      // 000000004CE8: BF0A4252
	s_cselect_b32 s21, s36, s60                                // 000000004CEC: 85153C24
	s_mov_b64 exec, s[20:21]                                   // 000000004CF0: BEFE0114
	global_atomic_add_f32 v6, v57, s[8:9]                      // 000000004CF4: DD348000 00083906
	global_atomic_add_f32 v6, v61, s[8:9] offset:256           // 000000004CFC: DD348100 00083D06
	s_mov_b64 exec, s[36:37]                                   // 000000004D04: BEFE0124
	v_mov_b32_e32 v6, v44                                      // 000000004D08: 7E0C032C
	s_mov_b64 s[60:61], 0                                      // 000000004D0C: BEBC0180
	v_readlane_b32 s82, v3, 8                                  // 000000004D10: D2890052 00011103
	s_and_b32 s82, s82, 0xffffff                               // 000000004D18: 8652FF52 00FFFFFF
	s_cmp_lt_u32 s82, s66                                      // 000000004D20: BF0A4252
	s_cselect_b32 s20, s36, s60                                // 000000004D24: 85143C24
	v_readlane_b32 s82, v3, 9                                  // 000000004D28: D2890052 00011303
	s_and_b32 s82, s82, 0xffffff                               // 000000004D30: 8652FF52 00FFFFFF
	s_cmp_lt_u32 s82, s66                                      // 000000004D38: BF0A4252
	s_cselect_b32 s21, s36, s60                                // 000000004D3C: 85153C24
	s_mov_b64 exec, s[20:21]                                   // 000000004D40: BEFE0114
	global_atomic_add_f32 v6, v64, s[8:9]                      // 000000004D44: DD348000 00084006
	global_atomic_add_f32 v6, v68, s[8:9] offset:256           // 000000004D4C: DD348100 00084406
	s_mov_b64 exec, s[36:37]                                   // 000000004D54: BEFE0124
	v_mov_b32_e32 v6, v45                                      // 000000004D58: 7E0C032D
	s_mov_b64 s[60:61], 0                                      // 000000004D5C: BEBC0180
	v_readlane_b32 s82, v3, 10                                 // 000000004D60: D2890052 00011503
	s_and_b32 s82, s82, 0xffffff                               // 000000004D68: 8652FF52 00FFFFFF
	s_cmp_lt_u32 s82, s66                                      // 000000004D70: BF0A4252
	s_cselect_b32 s20, s36, s60                                // 000000004D74: 85143C24
	v_readlane_b32 s82, v3, 11                                 // 000000004D78: D2890052 00011703
	s_and_b32 s82, s82, 0xffffff                               // 000000004D80: 8652FF52 00FFFFFF
	s_cmp_lt_u32 s82, s66                                      // 000000004D88: BF0A4252
	s_cselect_b32 s21, s36, s60                                // 000000004D8C: 85153C24
	s_mov_b64 exec, s[20:21]                                   // 000000004D90: BEFE0114
	global_atomic_add_f32 v6, v65, s[8:9]                      // 000000004D94: DD348000 00084106
	global_atomic_add_f32 v6, v69, s[8:9] offset:256           // 000000004D9C: DD348100 00084506
	s_mov_b64 exec, s[36:37]                                   // 000000004DA4: BEFE0124
	ds_write_b64 v20, v[50:51]                                 // 000000004DA8: D89A0000 00003214
	ds_write_b64 v20, v[54:55] offset:4352                     // 000000004DB0: D89A1100 00003614
	ds_write_b64 v20, v[58:59] offset:8704                     // 000000004DB8: D89A2200 00003A14
	ds_write_b64 v20, v[62:63] offset:2176                     // 000000004DC0: D89A0880 00003E14
	ds_write_b64 v20, v[66:67] offset:6528                     // 000000004DC8: D89A1980 00004214
	ds_write_b64 v20, v[70:71] offset:10880                    // 000000004DD0: D89A2A80 00004614
	s_waitcnt lgkmcnt(0)                                       // 000000004DD8: BF8CC07F
	s_barrier                                                  // 000000004DDC: BF8A0000
	ds_read_b32 v50, v21                                       // 000000004DE0: D86C0000 32000015
	ds_read_b32 v51, v21 offset:64                             // 000000004DE8: D86C0040 33000015
	ds_read_b32 v54, v21 offset:2176                           // 000000004DF0: D86C0880 36000015
	ds_read_b32 v55, v21 offset:2240                           // 000000004DF8: D86C08C0 37000015
	ds_read_b32 v58, v21 offset:4352                           // 000000004E00: D86C1100 3A000015
	ds_read_b32 v59, v21 offset:4416                           // 000000004E08: D86C1140 3B000015
	ds_read_b32 v62, v21 offset:6528                           // 000000004E10: D86C1980 3E000015
	ds_read_b32 v63, v21 offset:6592                           // 000000004E18: D86C19C0 3F000015
	ds_read_b32 v66, v21 offset:8704                           // 000000004E20: D86C2200 42000015
	ds_read_b32 v67, v21 offset:8768                           // 000000004E28: D86C2240 43000015
	ds_read_b32 v70, v21 offset:10880                          // 000000004E30: D86C2A80 46000015
	ds_read_b32 v71, v21 offset:10944                          // 000000004E38: D86C2AC0 47000015
	s_waitcnt lgkmcnt(0)                                       // 000000004E40: BF8CC07F
	v_mov_b32_e32 v7, 0                                        // 000000004E44: 7E0E0280
	s_mov_b64 exec, s[36:37]                                   // 000000004E48: BEFE0124
	v_mov_b32_e32 v6, v40                                      // 000000004E4C: 7E0C0328
	s_mov_b64 s[60:61], 0                                      // 000000004E50: BEBC0180
	v_readlane_b32 s82, v3, 0                                  // 000000004E54: D2890052 00010103
	s_and_b32 s82, s82, 0xffffff                               // 000000004E5C: 8652FF52 00FFFFFF
	s_cmp_lt_u32 s82, s66                                      // 000000004E64: BF0A4252
	s_cselect_b32 s20, s36, s60                                // 000000004E68: 85143C24
	v_readlane_b32 s82, v3, 1                                  // 000000004E6C: D2890052 00010303
	s_and_b32 s82, s82, 0xffffff                               // 000000004E74: 8652FF52 00FFFFFF
	s_cmp_lt_u32 s82, s66                                      // 000000004E7C: BF0A4252
	s_cselect_b32 s21, s36, s60                                // 000000004E80: 85153C24
	s_mov_b64 exec, s[20:21]                                   // 000000004E84: BEFE0114
	global_atomic_add_f32 v6, v50, s[8:9] offset:8             // 000000004E88: DD348008 00083206
	global_atomic_add_f32 v6, v54, s[8:9] offset:264           // 000000004E90: DD348108 00083606
	s_mov_b64 exec, s[36:37]                                   // 000000004E98: BEFE0124
	v_mov_b32_e32 v6, v41                                      // 000000004E9C: 7E0C0329
	s_mov_b64 s[60:61], 0                                      // 000000004EA0: BEBC0180
	v_readlane_b32 s82, v3, 2                                  // 000000004EA4: D2890052 00010503
	s_and_b32 s82, s82, 0xffffff                               // 000000004EAC: 8652FF52 00FFFFFF
	s_cmp_lt_u32 s82, s66                                      // 000000004EB4: BF0A4252
	s_cselect_b32 s20, s36, s60                                // 000000004EB8: 85143C24
	v_readlane_b32 s82, v3, 3                                  // 000000004EBC: D2890052 00010703
	s_and_b32 s82, s82, 0xffffff                               // 000000004EC4: 8652FF52 00FFFFFF
	s_cmp_lt_u32 s82, s66                                      // 000000004ECC: BF0A4252
	s_cselect_b32 s21, s36, s60                                // 000000004ED0: 85153C24
	s_mov_b64 exec, s[20:21]                                   // 000000004ED4: BEFE0114
	global_atomic_add_f32 v6, v51, s[8:9] offset:8             // 000000004ED8: DD348008 00083306
	global_atomic_add_f32 v6, v55, s[8:9] offset:264           // 000000004EE0: DD348108 00083706
	s_mov_b64 exec, s[36:37]                                   // 000000004EE8: BEFE0124
	v_mov_b32_e32 v6, v42                                      // 000000004EEC: 7E0C032A
	s_mov_b64 s[60:61], 0                                      // 000000004EF0: BEBC0180
	v_readlane_b32 s82, v3, 4                                  // 000000004EF4: D2890052 00010903
	s_and_b32 s82, s82, 0xffffff                               // 000000004EFC: 8652FF52 00FFFFFF
	s_cmp_lt_u32 s82, s66                                      // 000000004F04: BF0A4252
	s_cselect_b32 s20, s36, s60                                // 000000004F08: 85143C24
	v_readlane_b32 s82, v3, 5                                  // 000000004F0C: D2890052 00010B03
	s_and_b32 s82, s82, 0xffffff                               // 000000004F14: 8652FF52 00FFFFFF
	s_cmp_lt_u32 s82, s66                                      // 000000004F1C: BF0A4252
	s_cselect_b32 s21, s36, s60                                // 000000004F20: 85153C24
	s_mov_b64 exec, s[20:21]                                   // 000000004F24: BEFE0114
	global_atomic_add_f32 v6, v58, s[8:9] offset:8             // 000000004F28: DD348008 00083A06
	global_atomic_add_f32 v6, v62, s[8:9] offset:264           // 000000004F30: DD348108 00083E06
	s_mov_b64 exec, s[36:37]                                   // 000000004F38: BEFE0124
	v_mov_b32_e32 v6, v43                                      // 000000004F3C: 7E0C032B
	s_mov_b64 s[60:61], 0                                      // 000000004F40: BEBC0180
	v_readlane_b32 s82, v3, 6                                  // 000000004F44: D2890052 00010D03
	s_and_b32 s82, s82, 0xffffff                               // 000000004F4C: 8652FF52 00FFFFFF
	s_cmp_lt_u32 s82, s66                                      // 000000004F54: BF0A4252
	s_cselect_b32 s20, s36, s60                                // 000000004F58: 85143C24
	v_readlane_b32 s82, v3, 7                                  // 000000004F5C: D2890052 00010F03
	s_and_b32 s82, s82, 0xffffff                               // 000000004F64: 8652FF52 00FFFFFF
	s_cmp_lt_u32 s82, s66                                      // 000000004F6C: BF0A4252
	s_cselect_b32 s21, s36, s60                                // 000000004F70: 85153C24
	s_mov_b64 exec, s[20:21]                                   // 000000004F74: BEFE0114
	global_atomic_add_f32 v6, v59, s[8:9] offset:8             // 000000004F78: DD348008 00083B06
	global_atomic_add_f32 v6, v63, s[8:9] offset:264           // 000000004F80: DD348108 00083F06
	s_mov_b64 exec, s[36:37]                                   // 000000004F88: BEFE0124
	v_mov_b32_e32 v6, v44                                      // 000000004F8C: 7E0C032C
	s_mov_b64 s[60:61], 0                                      // 000000004F90: BEBC0180
	v_readlane_b32 s82, v3, 8                                  // 000000004F94: D2890052 00011103
	s_and_b32 s82, s82, 0xffffff                               // 000000004F9C: 8652FF52 00FFFFFF
	s_cmp_lt_u32 s82, s66                                      // 000000004FA4: BF0A4252
	s_cselect_b32 s20, s36, s60                                // 000000004FA8: 85143C24
	v_readlane_b32 s82, v3, 9                                  // 000000004FAC: D2890052 00011303
	s_and_b32 s82, s82, 0xffffff                               // 000000004FB4: 8652FF52 00FFFFFF
	s_cmp_lt_u32 s82, s66                                      // 000000004FBC: BF0A4252
	s_cselect_b32 s21, s36, s60                                // 000000004FC0: 85153C24
	s_mov_b64 exec, s[20:21]                                   // 000000004FC4: BEFE0114
	global_atomic_add_f32 v6, v66, s[8:9] offset:8             // 000000004FC8: DD348008 00084206
	global_atomic_add_f32 v6, v70, s[8:9] offset:264           // 000000004FD0: DD348108 00084606
	s_mov_b64 exec, s[36:37]                                   // 000000004FD8: BEFE0124
	v_mov_b32_e32 v6, v45                                      // 000000004FDC: 7E0C032D
	s_mov_b64 s[60:61], 0                                      // 000000004FE0: BEBC0180
	v_readlane_b32 s82, v3, 10                                 // 000000004FE4: D2890052 00011503
	s_and_b32 s82, s82, 0xffffff                               // 000000004FEC: 8652FF52 00FFFFFF
	s_cmp_lt_u32 s82, s66                                      // 000000004FF4: BF0A4252
	s_cselect_b32 s20, s36, s60                                // 000000004FF8: 85143C24
	v_readlane_b32 s82, v3, 11                                 // 000000004FFC: D2890052 00011703
	s_and_b32 s82, s82, 0xffffff                               // 000000005004: 8652FF52 00FFFFFF
	s_cmp_lt_u32 s82, s66                                      // 00000000500C: BF0A4252
	s_cselect_b32 s21, s36, s60                                // 000000005010: 85153C24
	s_mov_b64 exec, s[20:21]                                   // 000000005014: BEFE0114
	global_atomic_add_f32 v6, v67, s[8:9] offset:8             // 000000005018: DD348008 00084306
	global_atomic_add_f32 v6, v71, s[8:9] offset:264           // 000000005020: DD348108 00084706
	s_mov_b64 exec, s[36:37]                                   // 000000005028: BEFE0124
	ds_write_b64 v20, v[72:73]                                 // 00000000502C: D89A0000 00004814
	ds_write_b64 v20, v[76:77] offset:4352                     // 000000005034: D89A1100 00004C14
	ds_write_b64 v20, v[80:81] offset:8704                     // 00000000503C: D89A2200 00005014
	ds_write_b64 v20, v[84:85] offset:2176                     // 000000005044: D89A0880 00005414
	ds_write_b64 v20, v[88:89] offset:6528                     // 00000000504C: D89A1980 00005814
	ds_write_b64 v20, v[92:93] offset:10880                    // 000000005054: D89A2A80 00005C14
	s_waitcnt lgkmcnt(0)                                       // 00000000505C: BF8CC07F
	s_barrier                                                  // 000000005060: BF8A0000
	ds_read_b32 v72, v21                                       // 000000005064: D86C0000 48000015
	ds_read_b32 v73, v21 offset:64                             // 00000000506C: D86C0040 49000015
	ds_read_b32 v76, v21 offset:2176                           // 000000005074: D86C0880 4C000015
	ds_read_b32 v77, v21 offset:2240                           // 00000000507C: D86C08C0 4D000015
	ds_read_b32 v80, v21 offset:4352                           // 000000005084: D86C1100 50000015
	ds_read_b32 v81, v21 offset:4416                           // 00000000508C: D86C1140 51000015
	ds_read_b32 v84, v21 offset:6528                           // 000000005094: D86C1980 54000015
	ds_read_b32 v85, v21 offset:6592                           // 00000000509C: D86C19C0 55000015
	ds_read_b32 v88, v21 offset:8704                           // 0000000050A4: D86C2200 58000015
	ds_read_b32 v89, v21 offset:8768                           // 0000000050AC: D86C2240 59000015
	ds_read_b32 v92, v21 offset:10880                          // 0000000050B4: D86C2A80 5C000015
	ds_read_b32 v93, v21 offset:10944                          // 0000000050BC: D86C2AC0 5D000015
	s_mul_i32 s60, s65, 4                                      // 0000000050C4: 923C8441
	s_add_u32 s8, s60, s8                                      // 0000000050C8: 8008083C
	s_addc_u32 s9, 0, s9                                       // 0000000050CC: 82090980
	s_waitcnt lgkmcnt(0)                                       // 0000000050D0: BF8CC07F
	v_mov_b32_e32 v7, 0                                        // 0000000050D4: 7E0E0280
	s_mov_b64 exec, s[36:37]                                   // 0000000050D8: BEFE0124
	v_mov_b32_e32 v6, v40                                      // 0000000050DC: 7E0C0328
	s_mov_b64 s[60:61], 0                                      // 0000000050E0: BEBC0180
	v_readlane_b32 s82, v3, 0                                  // 0000000050E4: D2890052 00010103
	s_and_b32 s82, s82, 0xffffff                               // 0000000050EC: 8652FF52 00FFFFFF
	s_cmp_lt_u32 s82, s66                                      // 0000000050F4: BF0A4252
	s_cselect_b32 s20, s36, s60                                // 0000000050F8: 85143C24
	v_readlane_b32 s82, v3, 1                                  // 0000000050FC: D2890052 00010303
	s_and_b32 s82, s82, 0xffffff                               // 000000005104: 8652FF52 00FFFFFF
	s_cmp_lt_u32 s82, s66                                      // 00000000510C: BF0A4252
	s_cselect_b32 s21, s36, s60                                // 000000005110: 85153C24
	s_mov_b64 exec, s[20:21]                                   // 000000005114: BEFE0114
	global_atomic_add_f32 v6, v72, s[8:9]                      // 000000005118: DD348000 00084806
	global_atomic_add_f32 v6, v76, s[8:9] offset:256           // 000000005120: DD348100 00084C06
	s_mov_b64 exec, s[36:37]                                   // 000000005128: BEFE0124
	v_mov_b32_e32 v6, v41                                      // 00000000512C: 7E0C0329
	s_mov_b64 s[60:61], 0                                      // 000000005130: BEBC0180
	v_readlane_b32 s82, v3, 2                                  // 000000005134: D2890052 00010503
	s_and_b32 s82, s82, 0xffffff                               // 00000000513C: 8652FF52 00FFFFFF
	s_cmp_lt_u32 s82, s66                                      // 000000005144: BF0A4252
	s_cselect_b32 s20, s36, s60                                // 000000005148: 85143C24
	v_readlane_b32 s82, v3, 3                                  // 00000000514C: D2890052 00010703
	s_and_b32 s82, s82, 0xffffff                               // 000000005154: 8652FF52 00FFFFFF
	s_cmp_lt_u32 s82, s66                                      // 00000000515C: BF0A4252
	s_cselect_b32 s21, s36, s60                                // 000000005160: 85153C24
	s_mov_b64 exec, s[20:21]                                   // 000000005164: BEFE0114
	global_atomic_add_f32 v6, v73, s[8:9]                      // 000000005168: DD348000 00084906
	global_atomic_add_f32 v6, v77, s[8:9] offset:256           // 000000005170: DD348100 00084D06
	s_mov_b64 exec, s[36:37]                                   // 000000005178: BEFE0124
	v_mov_b32_e32 v6, v42                                      // 00000000517C: 7E0C032A
	s_mov_b64 s[60:61], 0                                      // 000000005180: BEBC0180
	v_readlane_b32 s82, v3, 4                                  // 000000005184: D2890052 00010903
	s_and_b32 s82, s82, 0xffffff                               // 00000000518C: 8652FF52 00FFFFFF
	s_cmp_lt_u32 s82, s66                                      // 000000005194: BF0A4252
	s_cselect_b32 s20, s36, s60                                // 000000005198: 85143C24
	v_readlane_b32 s82, v3, 5                                  // 00000000519C: D2890052 00010B03
	s_and_b32 s82, s82, 0xffffff                               // 0000000051A4: 8652FF52 00FFFFFF
	s_cmp_lt_u32 s82, s66                                      // 0000000051AC: BF0A4252
	s_cselect_b32 s21, s36, s60                                // 0000000051B0: 85153C24
	s_mov_b64 exec, s[20:21]                                   // 0000000051B4: BEFE0114
	global_atomic_add_f32 v6, v80, s[8:9]                      // 0000000051B8: DD348000 00085006
	global_atomic_add_f32 v6, v84, s[8:9] offset:256           // 0000000051C0: DD348100 00085406
	s_mov_b64 exec, s[36:37]                                   // 0000000051C8: BEFE0124
	v_mov_b32_e32 v6, v43                                      // 0000000051CC: 7E0C032B
	s_mov_b64 s[60:61], 0                                      // 0000000051D0: BEBC0180
	v_readlane_b32 s82, v3, 6                                  // 0000000051D4: D2890052 00010D03
	s_and_b32 s82, s82, 0xffffff                               // 0000000051DC: 8652FF52 00FFFFFF
	s_cmp_lt_u32 s82, s66                                      // 0000000051E4: BF0A4252
	s_cselect_b32 s20, s36, s60                                // 0000000051E8: 85143C24
	v_readlane_b32 s82, v3, 7                                  // 0000000051EC: D2890052 00010F03
	s_and_b32 s82, s82, 0xffffff                               // 0000000051F4: 8652FF52 00FFFFFF
	s_cmp_lt_u32 s82, s66                                      // 0000000051FC: BF0A4252
	s_cselect_b32 s21, s36, s60                                // 000000005200: 85153C24
	s_mov_b64 exec, s[20:21]                                   // 000000005204: BEFE0114
	global_atomic_add_f32 v6, v81, s[8:9]                      // 000000005208: DD348000 00085106
	global_atomic_add_f32 v6, v85, s[8:9] offset:256           // 000000005210: DD348100 00085506
	s_mov_b64 exec, s[36:37]                                   // 000000005218: BEFE0124
	v_mov_b32_e32 v6, v44                                      // 00000000521C: 7E0C032C
	s_mov_b64 s[60:61], 0                                      // 000000005220: BEBC0180
	v_readlane_b32 s82, v3, 8                                  // 000000005224: D2890052 00011103
	s_and_b32 s82, s82, 0xffffff                               // 00000000522C: 8652FF52 00FFFFFF
	s_cmp_lt_u32 s82, s66                                      // 000000005234: BF0A4252
	s_cselect_b32 s20, s36, s60                                // 000000005238: 85143C24
	v_readlane_b32 s82, v3, 9                                  // 00000000523C: D2890052 00011303
	s_and_b32 s82, s82, 0xffffff                               // 000000005244: 8652FF52 00FFFFFF
	s_cmp_lt_u32 s82, s66                                      // 00000000524C: BF0A4252
	s_cselect_b32 s21, s36, s60                                // 000000005250: 85153C24
	s_mov_b64 exec, s[20:21]                                   // 000000005254: BEFE0114
	global_atomic_add_f32 v6, v88, s[8:9]                      // 000000005258: DD348000 00085806
	global_atomic_add_f32 v6, v92, s[8:9] offset:256           // 000000005260: DD348100 00085C06
	s_mov_b64 exec, s[36:37]                                   // 000000005268: BEFE0124
	v_mov_b32_e32 v6, v45                                      // 00000000526C: 7E0C032D
	s_mov_b64 s[60:61], 0                                      // 000000005270: BEBC0180
	v_readlane_b32 s82, v3, 10                                 // 000000005274: D2890052 00011503
	s_and_b32 s82, s82, 0xffffff                               // 00000000527C: 8652FF52 00FFFFFF
	s_cmp_lt_u32 s82, s66                                      // 000000005284: BF0A4252
	s_cselect_b32 s20, s36, s60                                // 000000005288: 85143C24
	v_readlane_b32 s82, v3, 11                                 // 00000000528C: D2890052 00011703
	s_and_b32 s82, s82, 0xffffff                               // 000000005294: 8652FF52 00FFFFFF
	s_cmp_lt_u32 s82, s66                                      // 00000000529C: BF0A4252
	s_cselect_b32 s21, s36, s60                                // 0000000052A0: 85153C24
	s_mov_b64 exec, s[20:21]                                   // 0000000052A4: BEFE0114
	global_atomic_add_f32 v6, v89, s[8:9]                      // 0000000052A8: DD348000 00085906
	global_atomic_add_f32 v6, v93, s[8:9] offset:256           // 0000000052B0: DD348100 00085D06
	s_mov_b64 exec, s[36:37]                                   // 0000000052B8: BEFE0124
	ds_write_b64 v20, v[74:75]                                 // 0000000052BC: D89A0000 00004A14
	ds_write_b64 v20, v[78:79] offset:4352                     // 0000000052C4: D89A1100 00004E14
	ds_write_b64 v20, v[82:83] offset:8704                     // 0000000052CC: D89A2200 00005214
	ds_write_b64 v20, v[86:87] offset:2176                     // 0000000052D4: D89A0880 00005614
	ds_write_b64 v20, v[90:91] offset:6528                     // 0000000052DC: D89A1980 00005A14
	ds_write_b64 v20, v[94:95] offset:10880                    // 0000000052E4: D89A2A80 00005E14
	s_waitcnt lgkmcnt(0)                                       // 0000000052EC: BF8CC07F
	s_barrier                                                  // 0000000052F0: BF8A0000
	ds_read_b32 v74, v21                                       // 0000000052F4: D86C0000 4A000015
	ds_read_b32 v75, v21 offset:64                             // 0000000052FC: D86C0040 4B000015
	ds_read_b32 v78, v21 offset:2176                           // 000000005304: D86C0880 4E000015
	ds_read_b32 v79, v21 offset:2240                           // 00000000530C: D86C08C0 4F000015
	ds_read_b32 v82, v21 offset:4352                           // 000000005314: D86C1100 52000015
	ds_read_b32 v83, v21 offset:4416                           // 00000000531C: D86C1140 53000015
	ds_read_b32 v86, v21 offset:6528                           // 000000005324: D86C1980 56000015
	ds_read_b32 v87, v21 offset:6592                           // 00000000532C: D86C19C0 57000015
	ds_read_b32 v90, v21 offset:8704                           // 000000005334: D86C2200 5A000015
	ds_read_b32 v91, v21 offset:8768                           // 00000000533C: D86C2240 5B000015
	ds_read_b32 v94, v21 offset:10880                          // 000000005344: D86C2A80 5E000015
	ds_read_b32 v95, v21 offset:10944                          // 00000000534C: D86C2AC0 5F000015
	s_waitcnt lgkmcnt(0)                                       // 000000005354: BF8CC07F
	v_mov_b32_e32 v7, 0                                        // 000000005358: 7E0E0280
	s_mov_b64 exec, s[36:37]                                   // 00000000535C: BEFE0124
	v_mov_b32_e32 v6, v40                                      // 000000005360: 7E0C0328
	s_mov_b64 s[60:61], 0                                      // 000000005364: BEBC0180
	v_readlane_b32 s82, v3, 0                                  // 000000005368: D2890052 00010103
	s_and_b32 s82, s82, 0xffffff                               // 000000005370: 8652FF52 00FFFFFF
	s_cmp_lt_u32 s82, s66                                      // 000000005378: BF0A4252
	s_cselect_b32 s20, s36, s60                                // 00000000537C: 85143C24
	v_readlane_b32 s82, v3, 1                                  // 000000005380: D2890052 00010303
	s_and_b32 s82, s82, 0xffffff                               // 000000005388: 8652FF52 00FFFFFF
	s_cmp_lt_u32 s82, s66                                      // 000000005390: BF0A4252
	s_cselect_b32 s21, s36, s60                                // 000000005394: 85153C24
	s_mov_b64 exec, s[20:21]                                   // 000000005398: BEFE0114
	global_atomic_add_f32 v6, v74, s[8:9] offset:8             // 00000000539C: DD348008 00084A06
	global_atomic_add_f32 v6, v78, s[8:9] offset:264           // 0000000053A4: DD348108 00084E06
	s_mov_b64 exec, s[36:37]                                   // 0000000053AC: BEFE0124
	v_mov_b32_e32 v6, v41                                      // 0000000053B0: 7E0C0329
	s_mov_b64 s[60:61], 0                                      // 0000000053B4: BEBC0180
	v_readlane_b32 s82, v3, 2                                  // 0000000053B8: D2890052 00010503
	s_and_b32 s82, s82, 0xffffff                               // 0000000053C0: 8652FF52 00FFFFFF
	s_cmp_lt_u32 s82, s66                                      // 0000000053C8: BF0A4252
	s_cselect_b32 s20, s36, s60                                // 0000000053CC: 85143C24
	v_readlane_b32 s82, v3, 3                                  // 0000000053D0: D2890052 00010703
	s_and_b32 s82, s82, 0xffffff                               // 0000000053D8: 8652FF52 00FFFFFF
	s_cmp_lt_u32 s82, s66                                      // 0000000053E0: BF0A4252
	s_cselect_b32 s21, s36, s60                                // 0000000053E4: 85153C24
	s_mov_b64 exec, s[20:21]                                   // 0000000053E8: BEFE0114
	global_atomic_add_f32 v6, v75, s[8:9] offset:8             // 0000000053EC: DD348008 00084B06
	global_atomic_add_f32 v6, v79, s[8:9] offset:264           // 0000000053F4: DD348108 00084F06
	s_mov_b64 exec, s[36:37]                                   // 0000000053FC: BEFE0124
	v_mov_b32_e32 v6, v42                                      // 000000005400: 7E0C032A
	s_mov_b64 s[60:61], 0                                      // 000000005404: BEBC0180
	v_readlane_b32 s82, v3, 4                                  // 000000005408: D2890052 00010903
	s_and_b32 s82, s82, 0xffffff                               // 000000005410: 8652FF52 00FFFFFF
	s_cmp_lt_u32 s82, s66                                      // 000000005418: BF0A4252
	s_cselect_b32 s20, s36, s60                                // 00000000541C: 85143C24
	v_readlane_b32 s82, v3, 5                                  // 000000005420: D2890052 00010B03
	s_and_b32 s82, s82, 0xffffff                               // 000000005428: 8652FF52 00FFFFFF
	s_cmp_lt_u32 s82, s66                                      // 000000005430: BF0A4252
	s_cselect_b32 s21, s36, s60                                // 000000005434: 85153C24
	s_mov_b64 exec, s[20:21]                                   // 000000005438: BEFE0114
	global_atomic_add_f32 v6, v82, s[8:9] offset:8             // 00000000543C: DD348008 00085206
	global_atomic_add_f32 v6, v86, s[8:9] offset:264           // 000000005444: DD348108 00085606
	s_mov_b64 exec, s[36:37]                                   // 00000000544C: BEFE0124
	v_mov_b32_e32 v6, v43                                      // 000000005450: 7E0C032B
	s_mov_b64 s[60:61], 0                                      // 000000005454: BEBC0180
	v_readlane_b32 s82, v3, 6                                  // 000000005458: D2890052 00010D03
	s_and_b32 s82, s82, 0xffffff                               // 000000005460: 8652FF52 00FFFFFF
	s_cmp_lt_u32 s82, s66                                      // 000000005468: BF0A4252
	s_cselect_b32 s20, s36, s60                                // 00000000546C: 85143C24
	v_readlane_b32 s82, v3, 7                                  // 000000005470: D2890052 00010F03
	s_and_b32 s82, s82, 0xffffff                               // 000000005478: 8652FF52 00FFFFFF
	s_cmp_lt_u32 s82, s66                                      // 000000005480: BF0A4252
	s_cselect_b32 s21, s36, s60                                // 000000005484: 85153C24
	s_mov_b64 exec, s[20:21]                                   // 000000005488: BEFE0114
	global_atomic_add_f32 v6, v83, s[8:9] offset:8             // 00000000548C: DD348008 00085306
	global_atomic_add_f32 v6, v87, s[8:9] offset:264           // 000000005494: DD348108 00085706
	s_mov_b64 exec, s[36:37]                                   // 00000000549C: BEFE0124
	v_mov_b32_e32 v6, v44                                      // 0000000054A0: 7E0C032C
	s_mov_b64 s[60:61], 0                                      // 0000000054A4: BEBC0180
	v_readlane_b32 s82, v3, 8                                  // 0000000054A8: D2890052 00011103
	s_and_b32 s82, s82, 0xffffff                               // 0000000054B0: 8652FF52 00FFFFFF
	s_cmp_lt_u32 s82, s66                                      // 0000000054B8: BF0A4252
	s_cselect_b32 s20, s36, s60                                // 0000000054BC: 85143C24
	v_readlane_b32 s82, v3, 9                                  // 0000000054C0: D2890052 00011303
	s_and_b32 s82, s82, 0xffffff                               // 0000000054C8: 8652FF52 00FFFFFF
	s_cmp_lt_u32 s82, s66                                      // 0000000054D0: BF0A4252
	s_cselect_b32 s21, s36, s60                                // 0000000054D4: 85153C24
	s_mov_b64 exec, s[20:21]                                   // 0000000054D8: BEFE0114
	global_atomic_add_f32 v6, v90, s[8:9] offset:8             // 0000000054DC: DD348008 00085A06
	global_atomic_add_f32 v6, v94, s[8:9] offset:264           // 0000000054E4: DD348108 00085E06
	s_mov_b64 exec, s[36:37]                                   // 0000000054EC: BEFE0124
	v_mov_b32_e32 v6, v45                                      // 0000000054F0: 7E0C032D
	s_mov_b64 s[60:61], 0                                      // 0000000054F4: BEBC0180
	v_readlane_b32 s82, v3, 10                                 // 0000000054F8: D2890052 00011503
	s_and_b32 s82, s82, 0xffffff                               // 000000005500: 8652FF52 00FFFFFF
	s_cmp_lt_u32 s82, s66                                      // 000000005508: BF0A4252
	s_cselect_b32 s20, s36, s60                                // 00000000550C: 85143C24
	v_readlane_b32 s82, v3, 11                                 // 000000005510: D2890052 00011703
	s_and_b32 s82, s82, 0xffffff                               // 000000005518: 8652FF52 00FFFFFF
	s_cmp_lt_u32 s82, s66                                      // 000000005520: BF0A4252
	s_cselect_b32 s21, s36, s60                                // 000000005524: 85153C24
	s_mov_b64 exec, s[20:21]                                   // 000000005528: BEFE0114
	global_atomic_add_f32 v6, v91, s[8:9] offset:8             // 00000000552C: DD348008 00085B06
	global_atomic_add_f32 v6, v95, s[8:9] offset:264           // 000000005534: DD348108 00085F06
	s_mov_b64 exec, s[36:37]                                   // 00000000553C: BEFE0124
	s_branch label_137F                                        // 000000005540: BF8208AB

0000000000005544 <label_0AD4>:
	s_waitcnt vmcnt(2) lgkmcnt(0)                              // 000000005544: BF8C0072
	s_barrier                                                  // 000000005548: BF8A0000
	v_mfma_f32_16x16x32_fp8_fp8 v[48:51], a[48:49], a[0:1], v[48:51]// 00000000554C: D3F30030 1CC20130
	buffer_load_dwordx4 a[64:67], v46, s[84:87], 0 offen       // 000000005554: E05C1000 8095402E
	v_mfma_f32_16x16x32_fp8_fp8 v[48:51], a[50:51], a[2:3], v[48:51]// 00000000555C: D3F30030 1CC20532
	v_mfma_f32_16x16x32_fp8_fp8 v[48:51], a[52:53], a[4:5], v[48:51]// 000000005564: D3F30030 1CC20934
	v_mfma_f32_16x16x32_fp8_fp8 v[48:51], a[54:55], a[6:7], v[48:51]// 00000000556C: D3F30030 1CC20D36
	v_mfma_f32_16x16x32_fp8_fp8 v[52:55], a[48:49], a[8:9], v[52:55]// 000000005574: D3F30034 1CD21130
	buffer_load_dwordx4 a[68:71], v46, s[84:87], 0 offen offset:1024// 00000000557C: E05C1400 8095442E
	v_mfma_f32_16x16x32_fp8_fp8 v[52:55], a[50:51], a[10:11], v[52:55]// 000000005584: D3F30034 1CD21532
	v_mfma_f32_16x16x32_fp8_fp8 v[52:55], a[52:53], a[12:13], v[52:55]// 00000000558C: D3F30034 1CD21934
	v_mfma_f32_16x16x32_fp8_fp8 v[52:55], a[54:55], a[14:15], v[52:55]// 000000005594: D3F30034 1CD21D36
	v_mfma_f32_16x16x32_fp8_fp8 v[56:59], a[48:49], a[16:17], v[56:59]// 00000000559C: D3F30038 1CE22130
	buffer_load_dwordx4 a[72:75], v47, s[84:87], 0 offen       // 0000000055A4: E05C1000 8095482F
	v_mfma_f32_16x16x32_fp8_fp8 v[56:59], a[50:51], a[18:19], v[56:59]// 0000000055AC: D3F30038 1CE22532
	v_mfma_f32_16x16x32_fp8_fp8 v[56:59], a[52:53], a[20:21], v[56:59]// 0000000055B4: D3F30038 1CE22934
	v_mfma_f32_16x16x32_fp8_fp8 v[56:59], a[54:55], a[22:23], v[56:59]// 0000000055BC: D3F30038 1CE22D36
	s_waitcnt vmcnt(3)                                         // 0000000055C4: BF8C0F73
	v_mfma_f32_16x16x32_fp8_fp8 v[60:63], a[56:57], a[0:1], v[60:63]// 0000000055C8: D3F3003C 1CF20138
	buffer_load_dwordx4 a[76:79], v47, s[84:87], 0 offen offset:1024// 0000000055D0: E05C1400 80954C2F
	buffer_load_dword v40, s[20:23], 0 offen lds               // 0000000055D8: E0511000 80050028
	s_add_u32 m0, 0x100, s48                                   // 0000000055E0: 807C30FF 00000100
	v_mfma_f32_16x16x32_fp8_fp8 v[60:63], a[58:59], a[2:3], v[60:63]// 0000000055E8: D3F3003C 1CF2053A
	v_mfma_f32_16x16x32_fp8_fp8 v[60:63], a[60:61], a[4:5], v[60:63]// 0000000055F0: D3F3003C 1CF2093C
	buffer_load_dword v41, s[20:23], 0 offen lds               // 0000000055F8: E0511000 80050029
	s_add_u32 m0, 0x200, s48                                   // 000000005600: 807C30FF 00000200
	v_mfma_f32_16x16x32_fp8_fp8 v[60:63], a[62:63], a[6:7], v[60:63]// 000000005608: D3F3003C 1CF20D3E
	v_mfma_f32_16x16x32_fp8_fp8 v[64:67], a[56:57], a[8:9], v[64:67]// 000000005610: D3F30040 1D021138
	buffer_load_dword v42, s[20:23], 0 offen lds               // 000000005618: E0511000 8005002A
	s_add_u32 m0, 0x300, s48                                   // 000000005620: 807C30FF 00000300
	v_mfma_f32_16x16x32_fp8_fp8 v[64:67], a[58:59], a[10:11], v[64:67]// 000000005628: D3F30040 1D02153A
	v_mfma_f32_16x16x32_fp8_fp8 v[64:67], a[60:61], a[12:13], v[64:67]// 000000005630: D3F30040 1D02193C
	buffer_load_dword v43, s[20:23], 0 offen lds               // 000000005638: E0511000 8005002B
	s_add_u32 m0, 0x400, s48                                   // 000000005640: 807C30FF 00000400
	v_mfma_f32_16x16x32_fp8_fp8 v[64:67], a[62:63], a[14:15], v[64:67]// 000000005648: D3F30040 1D021D3E
	v_mfma_f32_16x16x32_fp8_fp8 v[68:71], a[56:57], a[16:17], v[68:71]// 000000005650: D3F30044 1D122138
	buffer_load_dword v44, s[20:23], 0 offen lds               // 000000005658: E0511000 8005002C
	s_add_u32 m0, 0x500, s48                                   // 000000005660: 807C30FF 00000500
	v_mfma_f32_16x16x32_fp8_fp8 v[68:71], a[58:59], a[18:19], v[68:71]// 000000005668: D3F30044 1D12253A
	s_add_u32 s60, 0x80, s80                                   // 000000005670: 803C50FF 00000080
	s_cmp_lt_u32 s60, s81                                      // 000000005678: BF0A513C
	s_cselect_b32 s83, s83, 0                                  // 00000000567C: 85538053
	v_mfma_f32_16x16x32_fp8_fp8 v[68:71], a[60:61], a[20:21], v[68:71]// 000000005680: D3F30044 1D12293C
	buffer_load_dword v45, s[20:23], 0 offen lds               // 000000005688: E0511000 8005002D
	s_add_u32 m0, 0, s49                                       // 000000005690: 807C3180
	v_mfma_f32_16x16x32_fp8_fp8 v[68:71], a[62:63], a[22:23], v[68:71]// 000000005694: D3F30044 1D122D3E
	s_waitcnt vmcnt(6)                                         // 00000000569C: BF8C0F76
	v_mfma_f32_16x16x32_fp8_fp8 v[72:75], a[64:65], a[0:1], v[72:75]// 0000000056A0: D3F30048 1D220140
	buffer_load_dwordx4 a[48:51], v46, s[24:27], 0 offen       // 0000000056A8: E05C1000 8086302E
	v_mfma_f32_16x16x32_fp8_fp8 v[72:75], a[66:67], a[2:3], v[72:75]// 0000000056B0: D3F30048 1D220542
	v_mfma_f32_16x16x32_fp8_fp8 v[72:75], a[68:69], a[4:5], v[72:75]// 0000000056B8: D3F30048 1D220944
	ds_read_b128 a[24:27], v2 offset:6272                      // 0000000056C0: DBFE1880 18000002
	ds_read_b128 a[28:31], v2 offset:6336                      // 0000000056C8: DBFE18C0 1C000002
	v_mfma_f32_16x16x32_fp8_fp8 v[72:75], a[70:71], a[6:7], v[72:75]// 0000000056D0: D3F30048 1D220D46
	v_mfma_f32_16x16x32_fp8_fp8 v[84:87], a[72:73], a[0:1], v[84:87]// 0000000056D8: D3F30054 1D520148
	buffer_load_dwordx4 a[52:55], v46, s[24:27], 0 offen offset:1024// 0000000056E0: E05C1400 8086342E
	v_mfma_f32_16x16x32_fp8_fp8 v[84:87], a[74:75], a[2:3], v[84:87]// 0000000056E8: D3F30054 1D52054A
	v_mfma_f32_16x16x32_fp8_fp8 v[84:87], a[76:77], a[4:5], v[84:87]// 0000000056F0: D3F30054 1D52094C
	ds_read_b128 a[32:35], v2 offset:6784                      // 0000000056F8: DBFE1A80 20000002
	ds_read_b128 a[36:39], v2 offset:6848                      // 000000005700: DBFE1AC0 24000002
	v_mfma_f32_16x16x32_fp8_fp8 v[84:87], a[78:79], a[6:7], v[84:87]// 000000005708: D3F30054 1D520D4E
	v_mfma_f32_16x16x32_fp8_fp8 v[76:79], a[64:65], a[8:9], v[76:79]// 000000005710: D3F3004C 1D321140
	buffer_load_dwordx4 a[56:59], v47, s[24:27], 0 offen       // 000000005718: E05C1000 8086382F
	v_mfma_f32_16x16x32_fp8_fp8 v[76:79], a[66:67], a[10:11], v[76:79]// 000000005720: D3F3004C 1D321542
	v_mfma_f32_16x16x32_fp8_fp8 v[76:79], a[68:69], a[12:13], v[76:79]// 000000005728: D3F3004C 1D321944
	ds_read_b128 a[40:43], v2 offset:7296                      // 000000005730: DBFE1C80 28000002
	ds_read_b128 a[44:47], v2 offset:7360                      // 000000005738: DBFE1CC0 2C000002
	v_mfma_f32_16x16x32_fp8_fp8 v[76:79], a[70:71], a[14:15], v[76:79]// 000000005740: D3F3004C 1D321D46
	v_mfma_f32_16x16x32_fp8_fp8 v[88:91], a[72:73], a[8:9], v[88:91]// 000000005748: D3F30058 1D621148
	buffer_load_dwordx4 a[60:63], v47, s[24:27], 0 offen offset:1024// 000000005750: E05C1400 80863C2F
	v_mfma_f32_16x16x32_fp8_fp8 v[88:91], a[74:75], a[10:11], v[88:91]// 000000005758: D3F30058 1D62154A
	v_mfma_f32_16x16x32_fp8_fp8 v[88:91], a[76:77], a[12:13], v[88:91]// 000000005760: D3F30058 1D62194C
	v_mfma_f32_16x16x32_fp8_fp8 v[88:91], a[78:79], a[14:15], v[88:91]// 000000005768: D3F30058 1D621D4E
	v_mfma_f32_16x16x32_fp8_fp8 v[80:83], a[64:65], a[16:17], v[80:83]// 000000005770: D3F30050 1D422140
	v_mfma_f32_16x16x32_fp8_fp8 v[80:83], a[66:67], a[18:19], v[80:83]// 000000005778: D3F30050 1D422542
	v_mfma_f32_16x16x32_fp8_fp8 v[80:83], a[68:69], a[20:21], v[80:83]// 000000005780: D3F30050 1D422944
	s_add_u32 s60, 0x180, s80                                  // 000000005788: 803C50FF 00000180
	s_cmp_lt_u32 s60, s81                                      // 000000005790: BF0A513C
	s_cselect_b32 s57, s57, 0                                  // 000000005794: 85398039
	v_mfma_f32_16x16x32_fp8_fp8 v[80:83], a[70:71], a[22:23], v[80:83]// 000000005798: D3F30050 1D422D46
	s_add_u32 s60, 0x100, s80                                  // 0000000057A0: 803C50FF 00000100
	s_cmp_lt_u32 s60, s81                                      // 0000000057A8: BF0A513C
	s_cselect_b32 s58, s58, 0                                  // 0000000057AC: 853A803A
	v_mfma_f32_16x16x32_fp8_fp8 v[92:95], a[72:73], a[16:17], v[92:95]// 0000000057B0: D3F3005C 1D722148
	s_add_u32 s24, s58, s24                                    // 0000000057B8: 8018183A
	s_addc_u32 s25, 0, s25                                     // 0000000057BC: 82191980
	v_mfma_f32_16x16x32_fp8_fp8 v[92:95], a[74:75], a[18:19], v[92:95]// 0000000057C0: D3F3005C 1D72254A
	s_add_u32 s20, s57, s20                                    // 0000000057C8: 80141439
	s_addc_u32 s21, 0, s21                                     // 0000000057CC: 82151580
	v_mfma_f32_16x16x32_fp8_fp8 v[92:95], a[76:77], a[20:21], v[92:95]// 0000000057D0: D3F3005C 1D72294C
	s_add_u32 s84, s83, s84                                    // 0000000057D8: 80545453
	s_addc_u32 s85, 0, s85                                     // 0000000057DC: 82555580
	v_mfma_f32_16x16x32_fp8_fp8 v[92:95], a[78:79], a[22:23], v[92:95]// 0000000057E0: D3F3005C 1D722D4E
	s_addk_i32 s80, 0x80                                       // 0000000057E8: B7500080
	s_cmp_lt_i32 s80, s81                                      // 0000000057EC: BF045150
	s_cbranch_scc0 label_0C2D                                  // 0000000057F0: BF8400AD
	s_waitcnt vmcnt(2) lgkmcnt(0)                              // 0000000057F4: BF8C0072
	s_barrier                                                  // 0000000057F8: BF8A0000
	v_mfma_f32_16x16x32_fp8_fp8 v[48:51], a[48:49], a[24:25], v[48:51]// 0000000057FC: D3F30030 1CC23130
	buffer_load_dwordx4 a[64:67], v46, s[84:87], 0 offen       // 000000005804: E05C1000 8095402E
	v_mfma_f32_16x16x32_fp8_fp8 v[48:51], a[50:51], a[26:27], v[48:51]// 00000000580C: D3F30030 1CC23532
	v_mfma_f32_16x16x32_fp8_fp8 v[48:51], a[52:53], a[28:29], v[48:51]// 000000005814: D3F30030 1CC23934
	v_mfma_f32_16x16x32_fp8_fp8 v[48:51], a[54:55], a[30:31], v[48:51]// 00000000581C: D3F30030 1CC23D36
	v_mfma_f32_16x16x32_fp8_fp8 v[52:55], a[48:49], a[32:33], v[52:55]// 000000005824: D3F30034 1CD24130
	buffer_load_dwordx4 a[68:71], v46, s[84:87], 0 offen offset:1024// 00000000582C: E05C1400 8095442E
	v_mfma_f32_16x16x32_fp8_fp8 v[52:55], a[50:51], a[34:35], v[52:55]// 000000005834: D3F30034 1CD24532
	v_mfma_f32_16x16x32_fp8_fp8 v[52:55], a[52:53], a[36:37], v[52:55]// 00000000583C: D3F30034 1CD24934
	v_mfma_f32_16x16x32_fp8_fp8 v[52:55], a[54:55], a[38:39], v[52:55]// 000000005844: D3F30034 1CD24D36
	v_mfma_f32_16x16x32_fp8_fp8 v[56:59], a[48:49], a[40:41], v[56:59]// 00000000584C: D3F30038 1CE25130
	buffer_load_dwordx4 a[72:75], v47, s[84:87], 0 offen       // 000000005854: E05C1000 8095482F
	v_mfma_f32_16x16x32_fp8_fp8 v[56:59], a[50:51], a[42:43], v[56:59]// 00000000585C: D3F30038 1CE25532
	v_mfma_f32_16x16x32_fp8_fp8 v[56:59], a[52:53], a[44:45], v[56:59]// 000000005864: D3F30038 1CE25934
	v_mfma_f32_16x16x32_fp8_fp8 v[56:59], a[54:55], a[46:47], v[56:59]// 00000000586C: D3F30038 1CE25D36
	s_waitcnt vmcnt(3)                                         // 000000005874: BF8C0F73
	v_mfma_f32_16x16x32_fp8_fp8 v[60:63], a[56:57], a[24:25], v[60:63]// 000000005878: D3F3003C 1CF23138
	buffer_load_dwordx4 a[76:79], v47, s[84:87], 0 offen offset:1024// 000000005880: E05C1400 80954C2F
	buffer_load_dword v40, s[20:23], 0 offen lds               // 000000005888: E0511000 80050028
	s_add_u32 m0, 0x100, s49                                   // 000000005890: 807C31FF 00000100
	v_mfma_f32_16x16x32_fp8_fp8 v[60:63], a[58:59], a[26:27], v[60:63]// 000000005898: D3F3003C 1CF2353A
	v_mfma_f32_16x16x32_fp8_fp8 v[60:63], a[60:61], a[28:29], v[60:63]// 0000000058A0: D3F3003C 1CF2393C
	buffer_load_dword v41, s[20:23], 0 offen lds               // 0000000058A8: E0511000 80050029
	s_add_u32 m0, 0x200, s49                                   // 0000000058B0: 807C31FF 00000200
	v_mfma_f32_16x16x32_fp8_fp8 v[60:63], a[62:63], a[30:31], v[60:63]// 0000000058B8: D3F3003C 1CF23D3E
	v_mfma_f32_16x16x32_fp8_fp8 v[64:67], a[56:57], a[32:33], v[64:67]// 0000000058C0: D3F30040 1D024138
	buffer_load_dword v42, s[20:23], 0 offen lds               // 0000000058C8: E0511000 8005002A
	s_add_u32 m0, 0x300, s49                                   // 0000000058D0: 807C31FF 00000300
	v_mfma_f32_16x16x32_fp8_fp8 v[64:67], a[58:59], a[34:35], v[64:67]// 0000000058D8: D3F30040 1D02453A
	v_mfma_f32_16x16x32_fp8_fp8 v[64:67], a[60:61], a[36:37], v[64:67]// 0000000058E0: D3F30040 1D02493C
	buffer_load_dword v43, s[20:23], 0 offen lds               // 0000000058E8: E0511000 8005002B
	s_add_u32 m0, 0x400, s49                                   // 0000000058F0: 807C31FF 00000400
	v_mfma_f32_16x16x32_fp8_fp8 v[64:67], a[62:63], a[38:39], v[64:67]// 0000000058F8: D3F30040 1D024D3E
	v_mfma_f32_16x16x32_fp8_fp8 v[68:71], a[56:57], a[40:41], v[68:71]// 000000005900: D3F30044 1D125138
	buffer_load_dword v44, s[20:23], 0 offen lds               // 000000005908: E0511000 8005002C
	s_add_u32 m0, 0x500, s49                                   // 000000005910: 807C31FF 00000500
	v_mfma_f32_16x16x32_fp8_fp8 v[68:71], a[58:59], a[42:43], v[68:71]// 000000005918: D3F30044 1D12553A
	s_add_u32 s60, 0x80, s80                                   // 000000005920: 803C50FF 00000080
	s_cmp_lt_u32 s60, s81                                      // 000000005928: BF0A513C
	s_cselect_b32 s83, s83, 0                                  // 00000000592C: 85538053
	v_mfma_f32_16x16x32_fp8_fp8 v[68:71], a[60:61], a[44:45], v[68:71]// 000000005930: D3F30044 1D12593C
	buffer_load_dword v45, s[20:23], 0 offen lds               // 000000005938: E0511000 8005002D
	s_add_u32 m0, 0, s48                                       // 000000005940: 807C3080
	v_mfma_f32_16x16x32_fp8_fp8 v[68:71], a[62:63], a[46:47], v[68:71]// 000000005944: D3F30044 1D125D3E
	s_waitcnt vmcnt(6)                                         // 00000000594C: BF8C0F76
	v_mfma_f32_16x16x32_fp8_fp8 v[72:75], a[64:65], a[24:25], v[72:75]// 000000005950: D3F30048 1D223140
	buffer_load_dwordx4 a[48:51], v46, s[24:27], 0 offen       // 000000005958: E05C1000 8086302E
	v_mfma_f32_16x16x32_fp8_fp8 v[72:75], a[66:67], a[26:27], v[72:75]// 000000005960: D3F30048 1D223542
	v_mfma_f32_16x16x32_fp8_fp8 v[72:75], a[68:69], a[28:29], v[72:75]// 000000005968: D3F30048 1D223944
	ds_read_b128 a[0:3], v2                                    // 000000005970: DBFE0000 00000002
	ds_read_b128 a[4:7], v2 offset:64                          // 000000005978: DBFE0040 04000002
	v_mfma_f32_16x16x32_fp8_fp8 v[72:75], a[70:71], a[30:31], v[72:75]// 000000005980: D3F30048 1D223D46
	v_mfma_f32_16x16x32_fp8_fp8 v[84:87], a[72:73], a[24:25], v[84:87]// 000000005988: D3F30054 1D523148
	buffer_load_dwordx4 a[52:55], v46, s[24:27], 0 offen offset:1024// 000000005990: E05C1400 8086342E
	v_mfma_f32_16x16x32_fp8_fp8 v[84:87], a[74:75], a[26:27], v[84:87]// 000000005998: D3F30054 1D52354A
	v_mfma_f32_16x16x32_fp8_fp8 v[84:87], a[76:77], a[28:29], v[84:87]// 0000000059A0: D3F30054 1D52394C
	ds_read_b128 a[8:11], v2 offset:512                        // 0000000059A8: DBFE0200 08000002
	ds_read_b128 a[12:15], v2 offset:576                       // 0000000059B0: DBFE0240 0C000002
	v_mfma_f32_16x16x32_fp8_fp8 v[84:87], a[78:79], a[30:31], v[84:87]// 0000000059B8: D3F30054 1D523D4E
	v_mfma_f32_16x16x32_fp8_fp8 v[76:79], a[64:65], a[32:33], v[76:79]// 0000000059C0: D3F3004C 1D324140
	buffer_load_dwordx4 a[56:59], v47, s[24:27], 0 offen       // 0000000059C8: E05C1000 8086382F
	v_mfma_f32_16x16x32_fp8_fp8 v[76:79], a[66:67], a[34:35], v[76:79]// 0000000059D0: D3F3004C 1D324542
	v_mfma_f32_16x16x32_fp8_fp8 v[76:79], a[68:69], a[36:37], v[76:79]// 0000000059D8: D3F3004C 1D324944
	ds_read_b128 a[16:19], v2 offset:1024                      // 0000000059E0: DBFE0400 10000002
	ds_read_b128 a[20:23], v2 offset:1088                      // 0000000059E8: DBFE0440 14000002
	v_mfma_f32_16x16x32_fp8_fp8 v[76:79], a[70:71], a[38:39], v[76:79]// 0000000059F0: D3F3004C 1D324D46
	v_mfma_f32_16x16x32_fp8_fp8 v[88:91], a[72:73], a[32:33], v[88:91]// 0000000059F8: D3F30058 1D624148
	buffer_load_dwordx4 a[60:63], v47, s[24:27], 0 offen offset:1024// 000000005A00: E05C1400 80863C2F
	v_mfma_f32_16x16x32_fp8_fp8 v[88:91], a[74:75], a[34:35], v[88:91]// 000000005A08: D3F30058 1D62454A
	v_mfma_f32_16x16x32_fp8_fp8 v[88:91], a[76:77], a[36:37], v[88:91]// 000000005A10: D3F30058 1D62494C
	v_mfma_f32_16x16x32_fp8_fp8 v[88:91], a[78:79], a[38:39], v[88:91]// 000000005A18: D3F30058 1D624D4E
	v_mfma_f32_16x16x32_fp8_fp8 v[80:83], a[64:65], a[40:41], v[80:83]// 000000005A20: D3F30050 1D425140
	v_mfma_f32_16x16x32_fp8_fp8 v[80:83], a[66:67], a[42:43], v[80:83]// 000000005A28: D3F30050 1D425542
	v_mfma_f32_16x16x32_fp8_fp8 v[80:83], a[68:69], a[44:45], v[80:83]// 000000005A30: D3F30050 1D425944
	s_add_u32 s60, 0x180, s80                                  // 000000005A38: 803C50FF 00000180
	s_cmp_lt_u32 s60, s81                                      // 000000005A40: BF0A513C
	s_cselect_b32 s57, s57, 0                                  // 000000005A44: 85398039
	v_mfma_f32_16x16x32_fp8_fp8 v[80:83], a[70:71], a[46:47], v[80:83]// 000000005A48: D3F30050 1D425D46
	s_add_u32 s60, 0x100, s80                                  // 000000005A50: 803C50FF 00000100
	s_cmp_lt_u32 s60, s81                                      // 000000005A58: BF0A513C
	s_cselect_b32 s58, s58, 0                                  // 000000005A5C: 853A803A
	v_mfma_f32_16x16x32_fp8_fp8 v[92:95], a[72:73], a[40:41], v[92:95]// 000000005A60: D3F3005C 1D725148
	s_add_u32 s24, s58, s24                                    // 000000005A68: 8018183A
	s_addc_u32 s25, 0, s25                                     // 000000005A6C: 82191980
	v_mfma_f32_16x16x32_fp8_fp8 v[92:95], a[74:75], a[42:43], v[92:95]// 000000005A70: D3F3005C 1D72554A
	s_add_u32 s20, s57, s20                                    // 000000005A78: 80141439
	s_addc_u32 s21, 0, s21                                     // 000000005A7C: 82151580
	v_mfma_f32_16x16x32_fp8_fp8 v[92:95], a[76:77], a[44:45], v[92:95]// 000000005A80: D3F3005C 1D72594C
	s_add_u32 s84, s83, s84                                    // 000000005A88: 80545453
	s_addc_u32 s85, 0, s85                                     // 000000005A8C: 82555580
	v_mfma_f32_16x16x32_fp8_fp8 v[92:95], a[78:79], a[46:47], v[92:95]// 000000005A90: D3F3005C 1D725D4E
	s_addk_i32 s80, 0x80                                       // 000000005A98: B7500080
	s_cmp_lt_i32 s80, s81                                      // 000000005A9C: BF045150
	s_cbranch_scc0 label_0C2D                                  // 000000005AA0: BF840001
	s_branch label_0AD4                                        // 000000005AA4: BF82FEA7

0000000000005aa8 <label_0C2D>:
	v_mul_f32_dpp v48, v24, v48 row_newbcast:0 row_mask:0xf bank_mask:0xf// 000000005AA8: 0A6060FA FF015018
	v_mul_f32_dpp v49, v24, v49 row_newbcast:1 row_mask:0xf bank_mask:0xf// 000000005AB0: 0A6262FA FF015118
	v_mul_f32_dpp v50, v24, v50 row_newbcast:2 row_mask:0xf bank_mask:0xf// 000000005AB8: 0A6464FA FF015218
	v_mul_f32_dpp v51, v24, v51 row_newbcast:3 row_mask:0xf bank_mask:0xf// 000000005AC0: 0A6666FA FF015318
	v_mul_f32_dpp v52, v24, v52 row_newbcast:0 row_mask:0xf bank_mask:0xf// 000000005AC8: 0A6868FA FF015018
	v_mul_f32_dpp v53, v24, v53 row_newbcast:1 row_mask:0xf bank_mask:0xf// 000000005AD0: 0A6A6AFA FF015118
	v_mul_f32_dpp v54, v24, v54 row_newbcast:2 row_mask:0xf bank_mask:0xf// 000000005AD8: 0A6C6CFA FF015218
	v_mul_f32_dpp v55, v24, v55 row_newbcast:3 row_mask:0xf bank_mask:0xf// 000000005AE0: 0A6E6EFA FF015318
	v_mul_f32_dpp v56, v24, v56 row_newbcast:0 row_mask:0xf bank_mask:0xf// 000000005AE8: 0A7070FA FF015018
	v_mul_f32_dpp v57, v24, v57 row_newbcast:1 row_mask:0xf bank_mask:0xf// 000000005AF0: 0A7272FA FF015118
	v_mul_f32_dpp v58, v24, v58 row_newbcast:2 row_mask:0xf bank_mask:0xf// 000000005AF8: 0A7474FA FF015218
	v_mul_f32_dpp v59, v24, v59 row_newbcast:3 row_mask:0xf bank_mask:0xf// 000000005B00: 0A7676FA FF015318
	v_mul_f32_dpp v60, v24, v60 row_newbcast:4 row_mask:0xf bank_mask:0xf// 000000005B08: 0A7878FA FF015418
	v_mul_f32_dpp v61, v24, v61 row_newbcast:5 row_mask:0xf bank_mask:0xf// 000000005B10: 0A7A7AFA FF015518
	v_mul_f32_dpp v62, v24, v62 row_newbcast:6 row_mask:0xf bank_mask:0xf// 000000005B18: 0A7C7CFA FF015618
	v_mul_f32_dpp v63, v24, v63 row_newbcast:7 row_mask:0xf bank_mask:0xf// 000000005B20: 0A7E7EFA FF015718
	v_mul_f32_dpp v64, v24, v64 row_newbcast:4 row_mask:0xf bank_mask:0xf// 000000005B28: 0A8080FA FF015418
	v_mul_f32_dpp v65, v24, v65 row_newbcast:5 row_mask:0xf bank_mask:0xf// 000000005B30: 0A8282FA FF015518
	v_mul_f32_dpp v66, v24, v66 row_newbcast:6 row_mask:0xf bank_mask:0xf// 000000005B38: 0A8484FA FF015618
	v_mul_f32_dpp v67, v24, v67 row_newbcast:7 row_mask:0xf bank_mask:0xf// 000000005B40: 0A8686FA FF015718
	v_mul_f32_dpp v68, v24, v68 row_newbcast:4 row_mask:0xf bank_mask:0xf// 000000005B48: 0A8888FA FF015418
	v_mul_f32_dpp v69, v24, v69 row_newbcast:5 row_mask:0xf bank_mask:0xf// 000000005B50: 0A8A8AFA FF015518
	v_mul_f32_dpp v70, v24, v70 row_newbcast:6 row_mask:0xf bank_mask:0xf// 000000005B58: 0A8C8CFA FF015618
	v_mul_f32_dpp v71, v24, v71 row_newbcast:7 row_mask:0xf bank_mask:0xf// 000000005B60: 0A8E8EFA FF015718
	v_mul_f32_dpp v72, v26, v72 row_newbcast:0 row_mask:0xf bank_mask:0xf// 000000005B68: 0A9090FA FF01501A
	v_mul_f32_dpp v73, v26, v73 row_newbcast:1 row_mask:0xf bank_mask:0xf// 000000005B70: 0A9292FA FF01511A
	v_mul_f32_dpp v74, v26, v74 row_newbcast:2 row_mask:0xf bank_mask:0xf// 000000005B78: 0A9494FA FF01521A
	v_mul_f32_dpp v75, v26, v75 row_newbcast:3 row_mask:0xf bank_mask:0xf// 000000005B80: 0A9696FA FF01531A
	v_mul_f32_dpp v76, v26, v76 row_newbcast:0 row_mask:0xf bank_mask:0xf// 000000005B88: 0A9898FA FF01501A
	v_mul_f32_dpp v77, v26, v77 row_newbcast:1 row_mask:0xf bank_mask:0xf// 000000005B90: 0A9A9AFA FF01511A
	v_mul_f32_dpp v78, v26, v78 row_newbcast:2 row_mask:0xf bank_mask:0xf// 000000005B98: 0A9C9CFA FF01521A
	v_mul_f32_dpp v79, v26, v79 row_newbcast:3 row_mask:0xf bank_mask:0xf// 000000005BA0: 0A9E9EFA FF01531A
	v_mul_f32_dpp v80, v26, v80 row_newbcast:0 row_mask:0xf bank_mask:0xf// 000000005BA8: 0AA0A0FA FF01501A
	v_mul_f32_dpp v81, v26, v81 row_newbcast:1 row_mask:0xf bank_mask:0xf// 000000005BB0: 0AA2A2FA FF01511A
	v_mul_f32_dpp v82, v26, v82 row_newbcast:2 row_mask:0xf bank_mask:0xf// 000000005BB8: 0AA4A4FA FF01521A
	v_mul_f32_dpp v83, v26, v83 row_newbcast:3 row_mask:0xf bank_mask:0xf// 000000005BC0: 0AA6A6FA FF01531A
	v_mul_f32_dpp v84, v26, v84 row_newbcast:4 row_mask:0xf bank_mask:0xf// 000000005BC8: 0AA8A8FA FF01541A
	v_mul_f32_dpp v85, v26, v85 row_newbcast:5 row_mask:0xf bank_mask:0xf// 000000005BD0: 0AAAAAFA FF01551A
	v_mul_f32_dpp v86, v26, v86 row_newbcast:6 row_mask:0xf bank_mask:0xf// 000000005BD8: 0AACACFA FF01561A
	v_mul_f32_dpp v87, v26, v87 row_newbcast:7 row_mask:0xf bank_mask:0xf// 000000005BE0: 0AAEAEFA FF01571A
	v_mul_f32_dpp v88, v26, v88 row_newbcast:4 row_mask:0xf bank_mask:0xf// 000000005BE8: 0AB0B0FA FF01541A
	v_mul_f32_dpp v89, v26, v89 row_newbcast:5 row_mask:0xf bank_mask:0xf// 000000005BF0: 0AB2B2FA FF01551A
	v_mul_f32_dpp v90, v26, v90 row_newbcast:6 row_mask:0xf bank_mask:0xf// 000000005BF8: 0AB4B4FA FF01561A
	v_mul_f32_dpp v91, v26, v91 row_newbcast:7 row_mask:0xf bank_mask:0xf// 000000005C00: 0AB6B6FA FF01571A
	v_mul_f32_dpp v92, v26, v92 row_newbcast:4 row_mask:0xf bank_mask:0xf// 000000005C08: 0AB8B8FA FF01541A
	v_mul_f32_dpp v93, v26, v93 row_newbcast:5 row_mask:0xf bank_mask:0xf// 000000005C10: 0ABABAFA FF01551A
	v_mul_f32_dpp v94, v26, v94 row_newbcast:6 row_mask:0xf bank_mask:0xf// 000000005C18: 0ABCBCFA FF01561A
	v_mul_f32_dpp v95, v26, v95 row_newbcast:7 row_mask:0xf bank_mask:0xf// 000000005C20: 0ABEBEFA FF01571A
	v_mul_f32_e32 v31, v31, v96                                // 000000005C28: 0A3EC11F
	v_mov_b32_e32 v4, v31                                      // 000000005C2C: 7E08031F
	v_mov_b32_e32 v5, v4                                       // 000000005C30: 7E0A0304
	v_pk_mul_f32 v[48:49], v[4:5], v[48:49]                    // 000000005C34: D3B14030 18026104
	v_pk_mul_f32 v[72:73], v[4:5], v[72:73]                    // 000000005C3C: D3B14048 18029104
	v_pk_mul_f32 v[50:51], v[4:5], v[50:51]                    // 000000005C44: D3B14032 18026504
	v_pk_mul_f32 v[74:75], v[4:5], v[74:75]                    // 000000005C4C: D3B1404A 18029504
	v_pk_mul_f32 v[60:61], v[4:5], v[60:61]                    // 000000005C54: D3B1403C 18027904
	v_pk_mul_f32 v[84:85], v[4:5], v[84:85]                    // 000000005C5C: D3B14054 1802A904
	v_pk_mul_f32 v[62:63], v[4:5], v[62:63]                    // 000000005C64: D3B1403E 18027D04
	v_pk_mul_f32 v[86:87], v[4:5], v[86:87]                    // 000000005C6C: D3B14056 1802AD04
	v_mul_f32_e32 v32, v32, v97                                // 000000005C74: 0A40C320
	v_mov_b32_e32 v4, v32                                      // 000000005C78: 7E080320
	v_mov_b32_e32 v5, v4                                       // 000000005C7C: 7E0A0304
	v_pk_mul_f32 v[52:53], v[4:5], v[52:53]                    // 000000005C80: D3B14034 18026904
	v_pk_mul_f32 v[76:77], v[4:5], v[76:77]                    // 000000005C88: D3B1404C 18029904
	v_pk_mul_f32 v[54:55], v[4:5], v[54:55]                    // 000000005C90: D3B14036 18026D04
	v_pk_mul_f32 v[78:79], v[4:5], v[78:79]                    // 000000005C98: D3B1404E 18029D04
	v_pk_mul_f32 v[64:65], v[4:5], v[64:65]                    // 000000005CA0: D3B14040 18028104
	v_pk_mul_f32 v[88:89], v[4:5], v[88:89]                    // 000000005CA8: D3B14058 1802B104
	v_pk_mul_f32 v[66:67], v[4:5], v[66:67]                    // 000000005CB0: D3B14042 18028504
	v_pk_mul_f32 v[90:91], v[4:5], v[90:91]                    // 000000005CB8: D3B1405A 1802B504
	v_mul_f32_e32 v33, v33, v98                                // 000000005CC0: 0A42C521
	v_mov_b32_e32 v4, v33                                      // 000000005CC4: 7E080321
	v_mov_b32_e32 v5, v4                                       // 000000005CC8: 7E0A0304
	v_pk_mul_f32 v[56:57], v[4:5], v[56:57]                    // 000000005CCC: D3B14038 18027104
	v_pk_mul_f32 v[80:81], v[4:5], v[80:81]                    // 000000005CD4: D3B14050 1802A104
	v_pk_mul_f32 v[58:59], v[4:5], v[58:59]                    // 000000005CDC: D3B1403A 18027504
	v_pk_mul_f32 v[82:83], v[4:5], v[82:83]                    // 000000005CE4: D3B14052 1802A504
	v_pk_mul_f32 v[68:69], v[4:5], v[68:69]                    // 000000005CEC: D3B14044 18028904
	v_pk_mul_f32 v[92:93], v[4:5], v[92:93]                    // 000000005CF4: D3B1405C 1802B904
	v_pk_mul_f32 v[70:71], v[4:5], v[70:71]                    // 000000005CFC: D3B14046 18028D04
	v_pk_mul_f32 v[94:95], v[4:5], v[94:95]                    // 000000005D04: D3B1405E 1802BD04
	s_cmp_eq_u32 s88, 0                                        // 000000005D0C: BF068058
	s_cbranch_scc0 label_1061                                  // 000000005D10: BF840399
	s_cmp_eq_u32 s89, 0                                        // 000000005D14: BF068059
	s_cbranch_scc1 label_0DBF                                  // 000000005D18: BF8500F5
	v_mov_b32_e32 v8, v1                                       // 000000005D1C: 7E100301
	v_mov_b32_e32 v9, v1                                       // 000000005D20: 7E120301
	s_mov_b32 s60, s6                                          // 000000005D24: BEBC0006
	s_mov_b32 s61, s6                                          // 000000005D28: BEBD0006
	v_pk_mul_f32 v[4:5], v[48:49], v[48:49]                    // 000000005D2C: D3B14004 18026130
	v_pk_mul_f32 v[6:7], v[50:51], v[50:51]                    // 000000005D34: D3B14006 18026532
	v_pk_fma_f32 v[4:5], v[4:5], s[78:79], v[8:9]              // 000000005D3C: D3B04004 1C209D04
	v_pk_fma_f32 v[6:7], v[6:7], s[78:79], v[8:9]              // 000000005D44: D3B04006 1C209D06
	v_pk_mul_f32 v[4:5], v[4:5], v[48:49]                      // 000000005D4C: D3B14004 18026104
	v_pk_mul_f32 v[6:7], v[6:7], v[50:51]                      // 000000005D54: D3B14006 18026506
	v_pk_mul_f32 v[4:5], v[4:5], s[60:61]                      // 000000005D5C: D3B14004 18007904
	v_pk_mul_f32 v[6:7], v[6:7], s[60:61]                      // 000000005D64: D3B14006 18007906
	v_exp_f32_e32 v4, v4                                       // 000000005D6C: 7E084104
	v_exp_f32_e32 v5, v5                                       // 000000005D70: 7E0A4105
	v_exp_f32_e32 v6, v6                                       // 000000005D74: 7E0C4106
	v_exp_f32_e32 v7, v7                                       // 000000005D78: 7E0E4107
	v_add_f32_e64 v4, v4, 1.0                                  // 000000005D7C: D1010004 0001E504
	v_add_f32_e64 v5, v5, 1.0                                  // 000000005D84: D1010005 0001E505
	v_add_f32_e64 v6, v6, 1.0                                  // 000000005D8C: D1010006 0001E506
	v_add_f32_e64 v7, v7, 1.0                                  // 000000005D94: D1010007 0001E507
	v_rcp_f32_e32 v4, v4                                       // 000000005D9C: 7E084504
	v_rcp_f32_e32 v5, v5                                       // 000000005DA0: 7E0A4505
	v_rcp_f32_e32 v6, v6                                       // 000000005DA4: 7E0C4506
	v_rcp_f32_e32 v7, v7                                       // 000000005DA8: 7E0E4507
	v_mul_f32_e32 v48, v48, v4                                 // 000000005DAC: 0A600930
	v_mul_f32_e32 v49, v49, v5                                 // 000000005DB0: 0A620B31
	v_mul_f32_e32 v50, v50, v6                                 // 000000005DB4: 0A640D32
	v_mul_f32_e32 v51, v51, v7                                 // 000000005DB8: 0A660F33
	v_mul_f32_e32 v48, v48, v72                                // 000000005DBC: 0A609130
	v_mul_f32_e32 v49, v49, v73                                // 000000005DC0: 0A629331
	v_mul_f32_e32 v50, v50, v74                                // 000000005DC4: 0A649532
	v_mul_f32_e32 v51, v51, v75                                // 000000005DC8: 0A669733
	v_pk_mul_f32 v[4:5], v[52:53], v[52:53]                    // 000000005DCC: D3B14004 18026934
	v_pk_mul_f32 v[6:7], v[54:55], v[54:55]                    // 000000005DD4: D3B14006 18026D36
	v_pk_fma_f32 v[4:5], v[4:5], s[78:79], v[8:9]              // 000000005DDC: D3B04004 1C209D04
	v_pk_fma_f32 v[6:7], v[6:7], s[78:79], v[8:9]              // 000000005DE4: D3B04006 1C209D06
	v_pk_mul_f32 v[4:5], v[4:5], v[52:53]                      // 000000005DEC: D3B14004 18026904
	v_pk_mul_f32 v[6:7], v[6:7], v[54:55]                      // 000000005DF4: D3B14006 18026D06
	v_pk_mul_f32 v[4:5], v[4:5], s[60:61]                      // 000000005DFC: D3B14004 18007904
	v_pk_mul_f32 v[6:7], v[6:7], s[60:61]                      // 000000005E04: D3B14006 18007906
	v_exp_f32_e32 v4, v4                                       // 000000005E0C: 7E084104
	v_exp_f32_e32 v5, v5                                       // 000000005E10: 7E0A4105
	v_exp_f32_e32 v6, v6                                       // 000000005E14: 7E0C4106
	v_exp_f32_e32 v7, v7                                       // 000000005E18: 7E0E4107
	v_add_f32_e64 v4, v4, 1.0                                  // 000000005E1C: D1010004 0001E504
	v_add_f32_e64 v5, v5, 1.0                                  // 000000005E24: D1010005 0001E505
	v_add_f32_e64 v6, v6, 1.0                                  // 000000005E2C: D1010006 0001E506
	v_add_f32_e64 v7, v7, 1.0                                  // 000000005E34: D1010007 0001E507
	v_rcp_f32_e32 v4, v4                                       // 000000005E3C: 7E084504
	v_rcp_f32_e32 v5, v5                                       // 000000005E40: 7E0A4505
	v_rcp_f32_e32 v6, v6                                       // 000000005E44: 7E0C4506
	v_rcp_f32_e32 v7, v7                                       // 000000005E48: 7E0E4507
	v_mul_f32_e32 v52, v52, v4                                 // 000000005E4C: 0A680934
	v_mul_f32_e32 v53, v53, v5                                 // 000000005E50: 0A6A0B35
	v_mul_f32_e32 v54, v54, v6                                 // 000000005E54: 0A6C0D36
	v_mul_f32_e32 v55, v55, v7                                 // 000000005E58: 0A6E0F37
	v_mul_f32_e32 v52, v52, v76                                // 000000005E5C: 0A689934
	v_mul_f32_e32 v53, v53, v77                                // 000000005E60: 0A6A9B35
	v_mul_f32_e32 v54, v54, v78                                // 000000005E64: 0A6C9D36
	v_mul_f32_e32 v55, v55, v79                                // 000000005E68: 0A6E9F37
	v_pk_mul_f32 v[4:5], v[56:57], v[56:57]                    // 000000005E6C: D3B14004 18027138
	v_pk_mul_f32 v[6:7], v[58:59], v[58:59]                    // 000000005E74: D3B14006 1802753A
	v_pk_fma_f32 v[4:5], v[4:5], s[78:79], v[8:9]              // 000000005E7C: D3B04004 1C209D04
	v_pk_fma_f32 v[6:7], v[6:7], s[78:79], v[8:9]              // 000000005E84: D3B04006 1C209D06
	v_pk_mul_f32 v[4:5], v[4:5], v[56:57]                      // 000000005E8C: D3B14004 18027104
	v_pk_mul_f32 v[6:7], v[6:7], v[58:59]                      // 000000005E94: D3B14006 18027506
	v_pk_mul_f32 v[4:5], v[4:5], s[60:61]                      // 000000005E9C: D3B14004 18007904
	v_pk_mul_f32 v[6:7], v[6:7], s[60:61]                      // 000000005EA4: D3B14006 18007906
	v_exp_f32_e32 v4, v4                                       // 000000005EAC: 7E084104
	v_exp_f32_e32 v5, v5                                       // 000000005EB0: 7E0A4105
	v_exp_f32_e32 v6, v6                                       // 000000005EB4: 7E0C4106
	v_exp_f32_e32 v7, v7                                       // 000000005EB8: 7E0E4107
	v_add_f32_e64 v4, v4, 1.0                                  // 000000005EBC: D1010004 0001E504
	v_add_f32_e64 v5, v5, 1.0                                  // 000000005EC4: D1010005 0001E505
	v_add_f32_e64 v6, v6, 1.0                                  // 000000005ECC: D1010006 0001E506
	v_add_f32_e64 v7, v7, 1.0                                  // 000000005ED4: D1010007 0001E507
	v_rcp_f32_e32 v4, v4                                       // 000000005EDC: 7E084504
	v_rcp_f32_e32 v5, v5                                       // 000000005EE0: 7E0A4505
	v_rcp_f32_e32 v6, v6                                       // 000000005EE4: 7E0C4506
	v_rcp_f32_e32 v7, v7                                       // 000000005EE8: 7E0E4507
	v_mul_f32_e32 v56, v56, v4                                 // 000000005EEC: 0A700938
	v_mul_f32_e32 v57, v57, v5                                 // 000000005EF0: 0A720B39
	v_mul_f32_e32 v58, v58, v6                                 // 000000005EF4: 0A740D3A
	v_mul_f32_e32 v59, v59, v7                                 // 000000005EF8: 0A760F3B
	v_mul_f32_e32 v56, v56, v80                                // 000000005EFC: 0A70A138
	v_mul_f32_e32 v57, v57, v81                                // 000000005F00: 0A72A339
	v_mul_f32_e32 v58, v58, v82                                // 000000005F04: 0A74A53A
	v_mul_f32_e32 v59, v59, v83                                // 000000005F08: 0A76A73B
	v_pk_mul_f32 v[4:5], v[60:61], v[60:61]                    // 000000005F0C: D3B14004 1802793C
	v_pk_mul_f32 v[6:7], v[62:63], v[62:63]                    // 000000005F14: D3B14006 18027D3E
	v_pk_fma_f32 v[4:5], v[4:5], s[78:79], v[8:9]              // 000000005F1C: D3B04004 1C209D04
	v_pk_fma_f32 v[6:7], v[6:7], s[78:79], v[8:9]              // 000000005F24: D3B04006 1C209D06
	v_pk_mul_f32 v[4:5], v[4:5], v[60:61]                      // 000000005F2C: D3B14004 18027904
	v_pk_mul_f32 v[6:7], v[6:7], v[62:63]                      // 000000005F34: D3B14006 18027D06
	v_pk_mul_f32 v[4:5], v[4:5], s[60:61]                      // 000000005F3C: D3B14004 18007904
	v_pk_mul_f32 v[6:7], v[6:7], s[60:61]                      // 000000005F44: D3B14006 18007906
	v_exp_f32_e32 v4, v4                                       // 000000005F4C: 7E084104
	v_exp_f32_e32 v5, v5                                       // 000000005F50: 7E0A4105
	v_exp_f32_e32 v6, v6                                       // 000000005F54: 7E0C4106
	v_exp_f32_e32 v7, v7                                       // 000000005F58: 7E0E4107
	v_add_f32_e64 v4, v4, 1.0                                  // 000000005F5C: D1010004 0001E504
	v_add_f32_e64 v5, v5, 1.0                                  // 000000005F64: D1010005 0001E505
	v_add_f32_e64 v6, v6, 1.0                                  // 000000005F6C: D1010006 0001E506
	v_add_f32_e64 v7, v7, 1.0                                  // 000000005F74: D1010007 0001E507
	v_rcp_f32_e32 v4, v4                                       // 000000005F7C: 7E084504
	v_rcp_f32_e32 v5, v5                                       // 000000005F80: 7E0A4505
	v_rcp_f32_e32 v6, v6                                       // 000000005F84: 7E0C4506
	v_rcp_f32_e32 v7, v7                                       // 000000005F88: 7E0E4507
	v_mul_f32_e32 v60, v60, v4                                 // 000000005F8C: 0A78093C
	v_mul_f32_e32 v61, v61, v5                                 // 000000005F90: 0A7A0B3D
	v_mul_f32_e32 v62, v62, v6                                 // 000000005F94: 0A7C0D3E
	v_mul_f32_e32 v63, v63, v7                                 // 000000005F98: 0A7E0F3F
	v_mul_f32_e32 v60, v60, v84                                // 000000005F9C: 0A78A93C
	v_mul_f32_e32 v61, v61, v85                                // 000000005FA0: 0A7AAB3D
	v_mul_f32_e32 v62, v62, v86                                // 000000005FA4: 0A7CAD3E
	v_mul_f32_e32 v63, v63, v87                                // 000000005FA8: 0A7EAF3F
	v_pk_mul_f32 v[4:5], v[64:65], v[64:65]                    // 000000005FAC: D3B14004 18028140
	v_pk_mul_f32 v[6:7], v[66:67], v[66:67]                    // 000000005FB4: D3B14006 18028542
	v_pk_fma_f32 v[4:5], v[4:5], s[78:79], v[8:9]              // 000000005FBC: D3B04004 1C209D04
	v_pk_fma_f32 v[6:7], v[6:7], s[78:79], v[8:9]              // 000000005FC4: D3B04006 1C209D06
	v_pk_mul_f32 v[4:5], v[4:5], v[64:65]                      // 000000005FCC: D3B14004 18028104
	v_pk_mul_f32 v[6:7], v[6:7], v[66:67]                      // 000000005FD4: D3B14006 18028506
	v_pk_mul_f32 v[4:5], v[4:5], s[60:61]                      // 000000005FDC: D3B14004 18007904
	v_pk_mul_f32 v[6:7], v[6:7], s[60:61]                      // 000000005FE4: D3B14006 18007906
	v_exp_f32_e32 v4, v4                                       // 000000005FEC: 7E084104
	v_exp_f32_e32 v5, v5                                       // 000000005FF0: 7E0A4105
	v_exp_f32_e32 v6, v6                                       // 000000005FF4: 7E0C4106
	v_exp_f32_e32 v7, v7                                       // 000000005FF8: 7E0E4107
	v_add_f32_e64 v4, v4, 1.0                                  // 000000005FFC: D1010004 0001E504
	v_add_f32_e64 v5, v5, 1.0                                  // 000000006004: D1010005 0001E505
	v_add_f32_e64 v6, v6, 1.0                                  // 00000000600C: D1010006 0001E506
	v_add_f32_e64 v7, v7, 1.0                                  // 000000006014: D1010007 0001E507
	v_rcp_f32_e32 v4, v4                                       // 00000000601C: 7E084504
	v_rcp_f32_e32 v5, v5                                       // 000000006020: 7E0A4505
	v_rcp_f32_e32 v6, v6                                       // 000000006024: 7E0C4506
	v_rcp_f32_e32 v7, v7                                       // 000000006028: 7E0E4507
	v_mul_f32_e32 v64, v64, v4                                 // 00000000602C: 0A800940
	v_mul_f32_e32 v65, v65, v5                                 // 000000006030: 0A820B41
	v_mul_f32_e32 v66, v66, v6                                 // 000000006034: 0A840D42
	v_mul_f32_e32 v67, v67, v7                                 // 000000006038: 0A860F43
	v_mul_f32_e32 v64, v64, v88                                // 00000000603C: 0A80B140
	v_mul_f32_e32 v65, v65, v89                                // 000000006040: 0A82B341
	v_mul_f32_e32 v66, v66, v90                                // 000000006044: 0A84B542
	v_mul_f32_e32 v67, v67, v91                                // 000000006048: 0A86B743
	v_pk_mul_f32 v[4:5], v[68:69], v[68:69]                    // 00000000604C: D3B14004 18028944
	v_pk_mul_f32 v[6:7], v[70:71], v[70:71]                    // 000000006054: D3B14006 18028D46
	v_pk_fma_f32 v[4:5], v[4:5], s[78:79], v[8:9]              // 00000000605C: D3B04004 1C209D04
	v_pk_fma_f32 v[6:7], v[6:7], s[78:79], v[8:9]              // 000000006064: D3B04006 1C209D06
	v_pk_mul_f32 v[4:5], v[4:5], v[68:69]                      // 00000000606C: D3B14004 18028904
	v_pk_mul_f32 v[6:7], v[6:7], v[70:71]                      // 000000006074: D3B14006 18028D06
	v_pk_mul_f32 v[4:5], v[4:5], s[60:61]                      // 00000000607C: D3B14004 18007904
	v_pk_mul_f32 v[6:7], v[6:7], s[60:61]                      // 000000006084: D3B14006 18007906
	v_exp_f32_e32 v4, v4                                       // 00000000608C: 7E084104
	v_exp_f32_e32 v5, v5                                       // 000000006090: 7E0A4105
	v_exp_f32_e32 v6, v6                                       // 000000006094: 7E0C4106
	v_exp_f32_e32 v7, v7                                       // 000000006098: 7E0E4107
	v_add_f32_e64 v4, v4, 1.0                                  // 00000000609C: D1010004 0001E504
	v_add_f32_e64 v5, v5, 1.0                                  // 0000000060A4: D1010005 0001E505
	v_add_f32_e64 v6, v6, 1.0                                  // 0000000060AC: D1010006 0001E506
	v_add_f32_e64 v7, v7, 1.0                                  // 0000000060B4: D1010007 0001E507
	v_rcp_f32_e32 v4, v4                                       // 0000000060BC: 7E084504
	v_rcp_f32_e32 v5, v5                                       // 0000000060C0: 7E0A4505
	v_rcp_f32_e32 v6, v6                                       // 0000000060C4: 7E0C4506
	v_rcp_f32_e32 v7, v7                                       // 0000000060C8: 7E0E4507
	v_mul_f32_e32 v68, v68, v4                                 // 0000000060CC: 0A880944
	v_mul_f32_e32 v69, v69, v5                                 // 0000000060D0: 0A8A0B45
	v_mul_f32_e32 v70, v70, v6                                 // 0000000060D4: 0A8C0D46
	v_mul_f32_e32 v71, v71, v7                                 // 0000000060D8: 0A8E0F47
	v_mul_f32_e32 v68, v68, v92                                // 0000000060DC: 0A88B944
	v_mul_f32_e32 v69, v69, v93                                // 0000000060E0: 0A8ABB45
	v_mul_f32_e32 v70, v70, v94                                // 0000000060E4: 0A8CBD46
	v_mul_f32_e32 v71, v71, v95                                // 0000000060E8: 0A8EBF47
	s_branch label_0E7F                                        // 0000000060EC: BF8200C0

00000000000060f0 <label_0DBF>:
	v_mul_f32_e64 v4, -v48, s6                                 // 0000000060F0: D1050004 20000D30
	v_mul_f32_e64 v5, -v49, s6                                 // 0000000060F8: D1050005 20000D31
	v_mul_f32_e64 v6, -v50, s6                                 // 000000006100: D1050006 20000D32
	v_mul_f32_e64 v7, -v51, s6                                 // 000000006108: D1050007 20000D33
	v_exp_f32_e32 v4, v4                                       // 000000006110: 7E084104
	v_exp_f32_e32 v5, v5                                       // 000000006114: 7E0A4105
	v_exp_f32_e32 v6, v6                                       // 000000006118: 7E0C4106
	v_exp_f32_e32 v7, v7                                       // 00000000611C: 7E0E4107
	v_add_f32_e64 v4, v4, 1.0                                  // 000000006120: D1010004 0001E504
	v_add_f32_e64 v5, v5, 1.0                                  // 000000006128: D1010005 0001E505
	v_add_f32_e64 v6, v6, 1.0                                  // 000000006130: D1010006 0001E506
	v_add_f32_e64 v7, v7, 1.0                                  // 000000006138: D1010007 0001E507
	v_rcp_f32_e32 v4, v4                                       // 000000006140: 7E084504
	v_rcp_f32_e32 v5, v5                                       // 000000006144: 7E0A4505
	v_rcp_f32_e32 v6, v6                                       // 000000006148: 7E0C4506
	v_rcp_f32_e32 v7, v7                                       // 00000000614C: 7E0E4507
	v_mul_f32_e32 v48, v48, v4                                 // 000000006150: 0A600930
	v_mul_f32_e32 v49, v49, v5                                 // 000000006154: 0A620B31
	v_mul_f32_e32 v50, v50, v6                                 // 000000006158: 0A640D32
	v_mul_f32_e32 v51, v51, v7                                 // 00000000615C: 0A660F33
	v_mul_f32_e32 v48, v48, v72                                // 000000006160: 0A609130
	v_mul_f32_e32 v49, v49, v73                                // 000000006164: 0A629331
	v_mul_f32_e32 v50, v50, v74                                // 000000006168: 0A649532
	v_mul_f32_e32 v51, v51, v75                                // 00000000616C: 0A669733
	v_mul_f32_e64 v4, -v52, s6                                 // 000000006170: D1050004 20000D34
	v_mul_f32_e64 v5, -v53, s6                                 // 000000006178: D1050005 20000D35
	v_mul_f32_e64 v6, -v54, s6                                 // 000000006180: D1050006 20000D36
	v_mul_f32_e64 v7, -v55, s6                                 // 000000006188: D1050007 20000D37
	v_exp_f32_e32 v4, v4                                       // 000000006190: 7E084104
	v_exp_f32_e32 v5, v5                                       // 000000006194: 7E0A4105
	v_exp_f32_e32 v6, v6                                       // 000000006198: 7E0C4106
	v_exp_f32_e32 v7, v7                                       // 00000000619C: 7E0E4107
	v_add_f32_e64 v4, v4, 1.0                                  // 0000000061A0: D1010004 0001E504
	v_add_f32_e64 v5, v5, 1.0                                  // 0000000061A8: D1010005 0001E505
	v_add_f32_e64 v6, v6, 1.0                                  // 0000000061B0: D1010006 0001E506
	v_add_f32_e64 v7, v7, 1.0                                  // 0000000061B8: D1010007 0001E507
	v_rcp_f32_e32 v4, v4                                       // 0000000061C0: 7E084504
	v_rcp_f32_e32 v5, v5                                       // 0000000061C4: 7E0A4505
	v_rcp_f32_e32 v6, v6                                       // 0000000061C8: 7E0C4506
	v_rcp_f32_e32 v7, v7                                       // 0000000061CC: 7E0E4507
	v_mul_f32_e32 v52, v52, v4                                 // 0000000061D0: 0A680934
	v_mul_f32_e32 v53, v53, v5                                 // 0000000061D4: 0A6A0B35
	v_mul_f32_e32 v54, v54, v6                                 // 0000000061D8: 0A6C0D36
	v_mul_f32_e32 v55, v55, v7                                 // 0000000061DC: 0A6E0F37
	v_mul_f32_e32 v52, v52, v76                                // 0000000061E0: 0A689934
	v_mul_f32_e32 v53, v53, v77                                // 0000000061E4: 0A6A9B35
	v_mul_f32_e32 v54, v54, v78                                // 0000000061E8: 0A6C9D36
	v_mul_f32_e32 v55, v55, v79                                // 0000000061EC: 0A6E9F37
	v_mul_f32_e64 v4, -v56, s6                                 // 0000000061F0: D1050004 20000D38
	v_mul_f32_e64 v5, -v57, s6                                 // 0000000061F8: D1050005 20000D39
	v_mul_f32_e64 v6, -v58, s6                                 // 000000006200: D1050006 20000D3A
	v_mul_f32_e64 v7, -v59, s6                                 // 000000006208: D1050007 20000D3B
	v_exp_f32_e32 v4, v4                                       // 000000006210: 7E084104
	v_exp_f32_e32 v5, v5                                       // 000000006214: 7E0A4105
	v_exp_f32_e32 v6, v6                                       // 000000006218: 7E0C4106
	v_exp_f32_e32 v7, v7                                       // 00000000621C: 7E0E4107
	v_add_f32_e64 v4, v4, 1.0                                  // 000000006220: D1010004 0001E504
	v_add_f32_e64 v5, v5, 1.0                                  // 000000006228: D1010005 0001E505
	v_add_f32_e64 v6, v6, 1.0                                  // 000000006230: D1010006 0001E506
	v_add_f32_e64 v7, v7, 1.0                                  // 000000006238: D1010007 0001E507
	v_rcp_f32_e32 v4, v4                                       // 000000006240: 7E084504
	v_rcp_f32_e32 v5, v5                                       // 000000006244: 7E0A4505
	v_rcp_f32_e32 v6, v6                                       // 000000006248: 7E0C4506
	v_rcp_f32_e32 v7, v7                                       // 00000000624C: 7E0E4507
	v_mul_f32_e32 v56, v56, v4                                 // 000000006250: 0A700938
	v_mul_f32_e32 v57, v57, v5                                 // 000000006254: 0A720B39
	v_mul_f32_e32 v58, v58, v6                                 // 000000006258: 0A740D3A
	v_mul_f32_e32 v59, v59, v7                                 // 00000000625C: 0A760F3B
	v_mul_f32_e32 v56, v56, v80                                // 000000006260: 0A70A138
	v_mul_f32_e32 v57, v57, v81                                // 000000006264: 0A72A339
	v_mul_f32_e32 v58, v58, v82                                // 000000006268: 0A74A53A
	v_mul_f32_e32 v59, v59, v83                                // 00000000626C: 0A76A73B
	v_mul_f32_e64 v4, -v60, s6                                 // 000000006270: D1050004 20000D3C
	v_mul_f32_e64 v5, -v61, s6                                 // 000000006278: D1050005 20000D3D
	v_mul_f32_e64 v6, -v62, s6                                 // 000000006280: D1050006 20000D3E
	v_mul_f32_e64 v7, -v63, s6                                 // 000000006288: D1050007 20000D3F
	v_exp_f32_e32 v4, v4                                       // 000000006290: 7E084104
	v_exp_f32_e32 v5, v5                                       // 000000006294: 7E0A4105
	v_exp_f32_e32 v6, v6                                       // 000000006298: 7E0C4106
	v_exp_f32_e32 v7, v7                                       // 00000000629C: 7E0E4107
	v_add_f32_e64 v4, v4, 1.0                                  // 0000000062A0: D1010004 0001E504
	v_add_f32_e64 v5, v5, 1.0                                  // 0000000062A8: D1010005 0001E505
	v_add_f32_e64 v6, v6, 1.0                                  // 0000000062B0: D1010006 0001E506
	v_add_f32_e64 v7, v7, 1.0                                  // 0000000062B8: D1010007 0001E507
	v_rcp_f32_e32 v4, v4                                       // 0000000062C0: 7E084504
	v_rcp_f32_e32 v5, v5                                       // 0000000062C4: 7E0A4505
	v_rcp_f32_e32 v6, v6                                       // 0000000062C8: 7E0C4506
	v_rcp_f32_e32 v7, v7                                       // 0000000062CC: 7E0E4507
	v_mul_f32_e32 v60, v60, v4                                 // 0000000062D0: 0A78093C
	v_mul_f32_e32 v61, v61, v5                                 // 0000000062D4: 0A7A0B3D
	v_mul_f32_e32 v62, v62, v6                                 // 0000000062D8: 0A7C0D3E
	v_mul_f32_e32 v63, v63, v7                                 // 0000000062DC: 0A7E0F3F
	v_mul_f32_e32 v60, v60, v84                                // 0000000062E0: 0A78A93C
	v_mul_f32_e32 v61, v61, v85                                // 0000000062E4: 0A7AAB3D
	v_mul_f32_e32 v62, v62, v86                                // 0000000062E8: 0A7CAD3E
	v_mul_f32_e32 v63, v63, v87                                // 0000000062EC: 0A7EAF3F
	v_mul_f32_e64 v4, -v64, s6                                 // 0000000062F0: D1050004 20000D40
	v_mul_f32_e64 v5, -v65, s6                                 // 0000000062F8: D1050005 20000D41
	v_mul_f32_e64 v6, -v66, s6                                 // 000000006300: D1050006 20000D42
	v_mul_f32_e64 v7, -v67, s6                                 // 000000006308: D1050007 20000D43
	v_exp_f32_e32 v4, v4                                       // 000000006310: 7E084104
	v_exp_f32_e32 v5, v5                                       // 000000006314: 7E0A4105
	v_exp_f32_e32 v6, v6                                       // 000000006318: 7E0C4106
	v_exp_f32_e32 v7, v7                                       // 00000000631C: 7E0E4107
	v_add_f32_e64 v4, v4, 1.0                                  // 000000006320: D1010004 0001E504
	v_add_f32_e64 v5, v5, 1.0                                  // 000000006328: D1010005 0001E505
	v_add_f32_e64 v6, v6, 1.0                                  // 000000006330: D1010006 0001E506
	v_add_f32_e64 v7, v7, 1.0                                  // 000000006338: D1010007 0001E507
	v_rcp_f32_e32 v4, v4                                       // 000000006340: 7E084504
	v_rcp_f32_e32 v5, v5                                       // 000000006344: 7E0A4505
	v_rcp_f32_e32 v6, v6                                       // 000000006348: 7E0C4506
	v_rcp_f32_e32 v7, v7                                       // 00000000634C: 7E0E4507
	v_mul_f32_e32 v64, v64, v4                                 // 000000006350: 0A800940
	v_mul_f32_e32 v65, v65, v5                                 // 000000006354: 0A820B41
	v_mul_f32_e32 v66, v66, v6                                 // 000000006358: 0A840D42
	v_mul_f32_e32 v67, v67, v7                                 // 00000000635C: 0A860F43
	v_mul_f32_e32 v64, v64, v88                                // 000000006360: 0A80B140
	v_mul_f32_e32 v65, v65, v89                                // 000000006364: 0A82B341
	v_mul_f32_e32 v66, v66, v90                                // 000000006368: 0A84B542
	v_mul_f32_e32 v67, v67, v91                                // 00000000636C: 0A86B743
	v_mul_f32_e64 v4, -v68, s6                                 // 000000006370: D1050004 20000D44
	v_mul_f32_e64 v5, -v69, s6                                 // 000000006378: D1050005 20000D45
	v_mul_f32_e64 v6, -v70, s6                                 // 000000006380: D1050006 20000D46
	v_mul_f32_e64 v7, -v71, s6                                 // 000000006388: D1050007 20000D47
	v_exp_f32_e32 v4, v4                                       // 000000006390: 7E084104
	v_exp_f32_e32 v5, v5                                       // 000000006394: 7E0A4105
	v_exp_f32_e32 v6, v6                                       // 000000006398: 7E0C4106
	v_exp_f32_e32 v7, v7                                       // 00000000639C: 7E0E4107
	v_add_f32_e64 v4, v4, 1.0                                  // 0000000063A0: D1010004 0001E504
	v_add_f32_e64 v5, v5, 1.0                                  // 0000000063A8: D1010005 0001E505
	v_add_f32_e64 v6, v6, 1.0                                  // 0000000063B0: D1010006 0001E506
	v_add_f32_e64 v7, v7, 1.0                                  // 0000000063B8: D1010007 0001E507
	v_rcp_f32_e32 v4, v4                                       // 0000000063C0: 7E084504
	v_rcp_f32_e32 v5, v5                                       // 0000000063C4: 7E0A4505
	v_rcp_f32_e32 v6, v6                                       // 0000000063C8: 7E0C4506
	v_rcp_f32_e32 v7, v7                                       // 0000000063CC: 7E0E4507
	v_mul_f32_e32 v68, v68, v4                                 // 0000000063D0: 0A880944
	v_mul_f32_e32 v69, v69, v5                                 // 0000000063D4: 0A8A0B45
	v_mul_f32_e32 v70, v70, v6                                 // 0000000063D8: 0A8C0D46
	v_mul_f32_e32 v71, v71, v7                                 // 0000000063DC: 0A8E0F47
	v_mul_f32_e32 v68, v68, v92                                // 0000000063E0: 0A88B944
	v_mul_f32_e32 v69, v69, v93                                // 0000000063E4: 0A8ABB45
	v_mul_f32_e32 v70, v70, v94                                // 0000000063E8: 0A8CBD46
	v_mul_f32_e32 v71, v71, v95                                // 0000000063EC: 0A8EBF47

00000000000063f0 <label_0E7F>:
	v_cmp_u_f32_e64 s[46:47], v48, v48                         // 0000000063F0: D048002E 00026130
	v_add3_u32 v16, v48, v19, 1                                // 0000000063F8: D1FF0010 02062730
	v_cndmask_b32_e64 v4, v16, v18, s[46:47]                   // 000000006400: D1000004 00BA2510
	v_cmp_u_f32_e64 s[46:47], v49, v49                         // 000000006408: D048002E 00026331
	v_add3_u32 v16, v49, v19, 1                                // 000000006410: D1FF0010 02062731
	v_cndmask_b32_e64 v5, v16, v18, s[46:47]                   // 000000006418: D1000005 00BA2510
	v_perm_b32 v48, v5, v4, s52                                // 000000006420: D1ED0030 00D20905
	v_cmp_u_f32_e64 s[46:47], v50, v50                         // 000000006428: D048002E 00026532
	v_add3_u32 v16, v50, v19, 1                                // 000000006430: D1FF0010 02062732
	v_cndmask_b32_e64 v4, v16, v18, s[46:47]                   // 000000006438: D1000004 00BA2510
	v_cmp_u_f32_e64 s[46:47], v51, v51                         // 000000006440: D048002E 00026733
	v_add3_u32 v16, v51, v19, 1                                // 000000006448: D1FF0010 02062733
	v_cndmask_b32_e64 v5, v16, v18, s[46:47]                   // 000000006450: D1000005 00BA2510
	v_perm_b32 v49, v5, v4, s52                                // 000000006458: D1ED0031 00D20905
	v_cmp_u_f32_e64 s[46:47], v52, v52                         // 000000006460: D048002E 00026934
	v_add3_u32 v16, v52, v19, 1                                // 000000006468: D1FF0010 02062734
	v_cndmask_b32_e64 v4, v16, v18, s[46:47]                   // 000000006470: D1000004 00BA2510
	v_cmp_u_f32_e64 s[46:47], v53, v53                         // 000000006478: D048002E 00026B35
	v_add3_u32 v16, v53, v19, 1                                // 000000006480: D1FF0010 02062735
	v_cndmask_b32_e64 v5, v16, v18, s[46:47]                   // 000000006488: D1000005 00BA2510
	v_perm_b32 v50, v5, v4, s52                                // 000000006490: D1ED0032 00D20905
	v_cmp_u_f32_e64 s[46:47], v54, v54                         // 000000006498: D048002E 00026D36
	v_add3_u32 v16, v54, v19, 1                                // 0000000064A0: D1FF0010 02062736
	v_cndmask_b32_e64 v4, v16, v18, s[46:47]                   // 0000000064A8: D1000004 00BA2510
	v_cmp_u_f32_e64 s[46:47], v55, v55                         // 0000000064B0: D048002E 00026F37
	v_add3_u32 v16, v55, v19, 1                                // 0000000064B8: D1FF0010 02062737
	v_cndmask_b32_e64 v5, v16, v18, s[46:47]                   // 0000000064C0: D1000005 00BA2510
	v_perm_b32 v51, v5, v4, s52                                // 0000000064C8: D1ED0033 00D20905
	v_cmp_u_f32_e64 s[46:47], v56, v56                         // 0000000064D0: D048002E 00027138
	v_add3_u32 v16, v56, v19, 1                                // 0000000064D8: D1FF0010 02062738
	v_cndmask_b32_e64 v4, v16, v18, s[46:47]                   // 0000000064E0: D1000004 00BA2510
	v_cmp_u_f32_e64 s[46:47], v57, v57                         // 0000000064E8: D048002E 00027339
	v_add3_u32 v16, v57, v19, 1                                // 0000000064F0: D1FF0010 02062739
	v_cndmask_b32_e64 v5, v16, v18, s[46:47]                   // 0000000064F8: D1000005 00BA2510
	v_perm_b32 v52, v5, v4, s52                                // 000000006500: D1ED0034 00D20905
	v_cmp_u_f32_e64 s[46:47], v58, v58                         // 000000006508: D048002E 0002753A
	v_add3_u32 v16, v58, v19, 1                                // 000000006510: D1FF0010 0206273A
	v_cndmask_b32_e64 v4, v16, v18, s[46:47]                   // 000000006518: D1000004 00BA2510
	v_cmp_u_f32_e64 s[46:47], v59, v59                         // 000000006520: D048002E 0002773B
	v_add3_u32 v16, v59, v19, 1                                // 000000006528: D1FF0010 0206273B
	v_cndmask_b32_e64 v5, v16, v18, s[46:47]                   // 000000006530: D1000005 00BA2510
	v_perm_b32 v53, v5, v4, s52                                // 000000006538: D1ED0035 00D20905
	v_cmp_u_f32_e64 s[46:47], v60, v60                         // 000000006540: D048002E 0002793C
	v_add3_u32 v16, v60, v19, 1                                // 000000006548: D1FF0010 0206273C
	v_cndmask_b32_e64 v4, v16, v18, s[46:47]                   // 000000006550: D1000004 00BA2510
	v_cmp_u_f32_e64 s[46:47], v61, v61                         // 000000006558: D048002E 00027B3D
	v_add3_u32 v16, v61, v19, 1                                // 000000006560: D1FF0010 0206273D
	v_cndmask_b32_e64 v5, v16, v18, s[46:47]                   // 000000006568: D1000005 00BA2510
	v_perm_b32 v54, v5, v4, s52                                // 000000006570: D1ED0036 00D20905
	v_cmp_u_f32_e64 s[46:47], v62, v62                         // 000000006578: D048002E 00027D3E
	v_add3_u32 v16, v62, v19, 1                                // 000000006580: D1FF0010 0206273E
	v_cndmask_b32_e64 v4, v16, v18, s[46:47]                   // 000000006588: D1000004 00BA2510
	v_cmp_u_f32_e64 s[46:47], v63, v63                         // 000000006590: D048002E 00027F3F
	v_add3_u32 v16, v63, v19, 1                                // 000000006598: D1FF0010 0206273F
	v_cndmask_b32_e64 v5, v16, v18, s[46:47]                   // 0000000065A0: D1000005 00BA2510
	v_perm_b32 v55, v5, v4, s52                                // 0000000065A8: D1ED0037 00D20905
	v_cmp_u_f32_e64 s[46:47], v64, v64                         // 0000000065B0: D048002E 00028140
	v_add3_u32 v16, v64, v19, 1                                // 0000000065B8: D1FF0010 02062740
	v_cndmask_b32_e64 v4, v16, v18, s[46:47]                   // 0000000065C0: D1000004 00BA2510
	v_cmp_u_f32_e64 s[46:47], v65, v65                         // 0000000065C8: D048002E 00028341
	v_add3_u32 v16, v65, v19, 1                                // 0000000065D0: D1FF0010 02062741
	v_cndmask_b32_e64 v5, v16, v18, s[46:47]                   // 0000000065D8: D1000005 00BA2510
	v_perm_b32 v56, v5, v4, s52                                // 0000000065E0: D1ED0038 00D20905
	v_cmp_u_f32_e64 s[46:47], v66, v66                         // 0000000065E8: D048002E 00028542
	v_add3_u32 v16, v66, v19, 1                                // 0000000065F0: D1FF0010 02062742
	v_cndmask_b32_e64 v4, v16, v18, s[46:47]                   // 0000000065F8: D1000004 00BA2510
	v_cmp_u_f32_e64 s[46:47], v67, v67                         // 000000006600: D048002E 00028743
	v_add3_u32 v16, v67, v19, 1                                // 000000006608: D1FF0010 02062743
	v_cndmask_b32_e64 v5, v16, v18, s[46:47]                   // 000000006610: D1000005 00BA2510
	v_perm_b32 v57, v5, v4, s52                                // 000000006618: D1ED0039 00D20905
	v_cmp_u_f32_e64 s[46:47], v68, v68                         // 000000006620: D048002E 00028944
	v_add3_u32 v16, v68, v19, 1                                // 000000006628: D1FF0010 02062744
	v_cndmask_b32_e64 v4, v16, v18, s[46:47]                   // 000000006630: D1000004 00BA2510
	v_cmp_u_f32_e64 s[46:47], v69, v69                         // 000000006638: D048002E 00028B45
	v_add3_u32 v16, v69, v19, 1                                // 000000006640: D1FF0010 02062745
	v_cndmask_b32_e64 v5, v16, v18, s[46:47]                   // 000000006648: D1000005 00BA2510
	v_perm_b32 v58, v5, v4, s52                                // 000000006650: D1ED003A 00D20905
	v_cmp_u_f32_e64 s[46:47], v70, v70                         // 000000006658: D048002E 00028D46
	v_add3_u32 v16, v70, v19, 1                                // 000000006660: D1FF0010 02062746
	v_cndmask_b32_e64 v4, v16, v18, s[46:47]                   // 000000006668: D1000004 00BA2510
	v_cmp_u_f32_e64 s[46:47], v71, v71                         // 000000006670: D048002E 00028F47
	v_add3_u32 v16, v71, v19, 1                                // 000000006678: D1FF0010 02062747
	v_cndmask_b32_e64 v5, v16, v18, s[46:47]                   // 000000006680: D1000005 00BA2510
	v_perm_b32 v59, v5, v4, s52                                // 000000006688: D1ED003B 00D20905
	ds_write_b64 v20, v[48:49]                                 // 000000006690: D89A0000 00003014
	ds_write_b64 v20, v[50:51] offset:4352                     // 000000006698: D89A1100 00003214
	ds_write_b64 v20, v[52:53] offset:8704                     // 0000000066A0: D89A2200 00003414
	ds_write_b64 v20, v[54:55] offset:2176                     // 0000000066A8: D89A0880 00003614
	ds_write_b64 v20, v[56:57] offset:6528                     // 0000000066B0: D89A1980 00003814
	ds_write_b64 v20, v[58:59] offset:10880                    // 0000000066B8: D89A2A80 00003A14
	v_lshrrev_b32_e32 v4, 5, v0                                // 0000000066C0: 20080085
	v_xor_b32_e32 v5, 1, v4                                    // 0000000066C4: 2A0A0881
	s_mul_i32 s60, s65, 2                                      // 0000000066C8: 923C8241
	s_cmp_eq_u32 s88, 0                                        // 0000000066CC: BF068058
	s_cselect_b32 s61, 1, 4                                    // 0000000066D0: 853D8481
	s_mul_i32 s60, s61, s60                                    // 0000000066D4: 923C3C3D
	v_readlane_b32 s82, v3, 0                                  // 0000000066D8: D2890052 00010103
	s_lshr_b32 s61, s82, 24                                    // 0000000066E0: 8F3D9852
	s_and_b32 s82, s82, 0xffffff                               // 0000000066E4: 8652FF52 00FFFFFF
	s_mul_i32 s82, s82, s71                                    // 0000000066EC: 92524752
	s_mul_i32 s61, s60, s61                                    // 0000000066F0: 923D3D3C
	s_add_u32 s82, s82, s61                                    // 0000000066F4: 80523D52
	v_mul_lo_u32 v6, v5, s82                                   // 0000000066F8: D2850006 0000A505
	v_readlane_b32 s82, v3, 1                                  // 000000006700: D2890052 00010303
	s_lshr_b32 s61, s82, 24                                    // 000000006708: 8F3D9852
	s_and_b32 s82, s82, 0xffffff                               // 00000000670C: 8652FF52 00FFFFFF
	s_mul_i32 s82, s82, s71                                    // 000000006714: 92524752
	s_mul_i32 s61, s60, s61                                    // 000000006718: 923D3D3C
	s_add_u32 s82, s82, s61                                    // 00000000671C: 80523D52
	v_mul_lo_u32 v7, v4, s82                                   // 000000006720: D2850007 0000A504
	v_add_u32_e32 v40, v6, v7                                  // 000000006728: 68500F06
	v_readlane_b32 s82, v3, 2                                  // 00000000672C: D2890052 00010503
	s_lshr_b32 s61, s82, 24                                    // 000000006734: 8F3D9852
	s_and_b32 s82, s82, 0xffffff                               // 000000006738: 8652FF52 00FFFFFF
	s_mul_i32 s82, s82, s71                                    // 000000006740: 92524752
	s_mul_i32 s61, s60, s61                                    // 000000006744: 923D3D3C
	s_add_u32 s82, s82, s61                                    // 000000006748: 80523D52
	v_mul_lo_u32 v6, v5, s82                                   // 00000000674C: D2850006 0000A505
	v_readlane_b32 s82, v3, 3                                  // 000000006754: D2890052 00010703
	s_lshr_b32 s61, s82, 24                                    // 00000000675C: 8F3D9852
	s_and_b32 s82, s82, 0xffffff                               // 000000006760: 8652FF52 00FFFFFF
	s_mul_i32 s82, s82, s71                                    // 000000006768: 92524752
	s_mul_i32 s61, s60, s61                                    // 00000000676C: 923D3D3C
	s_add_u32 s82, s82, s61                                    // 000000006770: 80523D52
	v_mul_lo_u32 v7, v4, s82                                   // 000000006774: D2850007 0000A504
	v_add_u32_e32 v41, v6, v7                                  // 00000000677C: 68520F06
	v_readlane_b32 s82, v3, 4                                  // 000000006780: D2890052 00010903
	s_lshr_b32 s61, s82, 24                                    // 000000006788: 8F3D9852
	s_and_b32 s82, s82, 0xffffff                               // 00000000678C: 8652FF52 00FFFFFF
	s_mul_i32 s82, s82, s71                                    // 000000006794: 92524752
	s_mul_i32 s61, s60, s61                                    // 000000006798: 923D3D3C
	s_add_u32 s82, s82, s61                                    // 00000000679C: 80523D52
	v_mul_lo_u32 v6, v5, s82                                   // 0000000067A0: D2850006 0000A505
	v_readlane_b32 s82, v3, 5                                  // 0000000067A8: D2890052 00010B03
	s_lshr_b32 s61, s82, 24                                    // 0000000067B0: 8F3D9852
	s_and_b32 s82, s82, 0xffffff                               // 0000000067B4: 8652FF52 00FFFFFF
	s_mul_i32 s82, s82, s71                                    // 0000000067BC: 92524752
	s_mul_i32 s61, s60, s61                                    // 0000000067C0: 923D3D3C
	s_add_u32 s82, s82, s61                                    // 0000000067C4: 80523D52
	v_mul_lo_u32 v7, v4, s82                                   // 0000000067C8: D2850007 0000A504
	v_add_u32_e32 v42, v6, v7                                  // 0000000067D0: 68540F06
	v_readlane_b32 s82, v3, 6                                  // 0000000067D4: D2890052 00010D03
	s_lshr_b32 s61, s82, 24                                    // 0000000067DC: 8F3D9852
	s_and_b32 s82, s82, 0xffffff                               // 0000000067E0: 8652FF52 00FFFFFF
	s_mul_i32 s82, s82, s71                                    // 0000000067E8: 92524752
	s_mul_i32 s61, s60, s61                                    // 0000000067EC: 923D3D3C
	s_add_u32 s82, s82, s61                                    // 0000000067F0: 80523D52
	v_mul_lo_u32 v6, v5, s82                                   // 0000000067F4: D2850006 0000A505
	v_readlane_b32 s82, v3, 7                                  // 0000000067FC: D2890052 00010F03
	s_lshr_b32 s61, s82, 24                                    // 000000006804: 8F3D9852
	s_and_b32 s82, s82, 0xffffff                               // 000000006808: 8652FF52 00FFFFFF
	s_mul_i32 s82, s82, s71                                    // 000000006810: 92524752
	s_mul_i32 s61, s60, s61                                    // 000000006814: 923D3D3C
	s_add_u32 s82, s82, s61                                    // 000000006818: 80523D52
	v_mul_lo_u32 v7, v4, s82                                   // 00000000681C: D2850007 0000A504
	v_add_u32_e32 v43, v6, v7                                  // 000000006824: 68560F06
	v_readlane_b32 s82, v3, 8                                  // 000000006828: D2890052 00011103
	s_lshr_b32 s61, s82, 24                                    // 000000006830: 8F3D9852
	s_and_b32 s82, s82, 0xffffff                               // 000000006834: 8652FF52 00FFFFFF
	s_mul_i32 s82, s82, s71                                    // 00000000683C: 92524752
	s_mul_i32 s61, s60, s61                                    // 000000006840: 923D3D3C
	s_add_u32 s82, s82, s61                                    // 000000006844: 80523D52
	v_mul_lo_u32 v6, v5, s82                                   // 000000006848: D2850006 0000A505
	v_readlane_b32 s82, v3, 9                                  // 000000006850: D2890052 00011303
	s_lshr_b32 s61, s82, 24                                    // 000000006858: 8F3D9852
	s_and_b32 s82, s82, 0xffffff                               // 00000000685C: 8652FF52 00FFFFFF
	s_mul_i32 s82, s82, s71                                    // 000000006864: 92524752
	s_mul_i32 s61, s60, s61                                    // 000000006868: 923D3D3C
	s_add_u32 s82, s82, s61                                    // 00000000686C: 80523D52
	v_mul_lo_u32 v7, v4, s82                                   // 000000006870: D2850007 0000A504
	v_add_u32_e32 v44, v6, v7                                  // 000000006878: 68580F06
	v_readlane_b32 s82, v3, 10                                 // 00000000687C: D2890052 00011503
	s_lshr_b32 s61, s82, 24                                    // 000000006884: 8F3D9852
	s_and_b32 s82, s82, 0xffffff                               // 000000006888: 8652FF52 00FFFFFF
	s_mul_i32 s82, s82, s71                                    // 000000006890: 92524752
	s_mul_i32 s61, s60, s61                                    // 000000006894: 923D3D3C
	s_add_u32 s82, s82, s61                                    // 000000006898: 80523D52
	v_mul_lo_u32 v6, v5, s82                                   // 00000000689C: D2850006 0000A505
	v_readlane_b32 s82, v3, 11                                 // 0000000068A4: D2890052 00011703
	s_lshr_b32 s61, s82, 24                                    // 0000000068AC: 8F3D9852
	s_and_b32 s82, s82, 0xffffff                               // 0000000068B0: 8652FF52 00FFFFFF
	s_mul_i32 s82, s82, s71                                    // 0000000068B8: 92524752
	s_mul_i32 s61, s60, s61                                    // 0000000068BC: 923D3D3C
	s_add_u32 s82, s82, s61                                    // 0000000068C0: 80523D52
	v_mul_lo_u32 v7, v4, s82                                   // 0000000068C4: D2850007 0000A504
	v_add_u32_e32 v45, v6, v7                                  // 0000000068CC: 685A0F06
	v_and_b32_e32 v4, 31, v0                                   // 0000000068D0: 2608009F
	v_lshrrev_b32_e32 v4, 1, v4                                // 0000000068D4: 20080881
	s_cmp_eq_u32 s88, 0                                        // 0000000068D8: BF068058
	s_cselect_b32 s61, 2, 4                                    // 0000000068DC: 853D8482
	v_mul_lo_u32 v4, v4, s61                                   // 0000000068E0: D2850004 00007B04
	v_and_b32_e64 v5, v0, 1                                    // 0000000068E8: D1130005 00010300
	v_add_u32_e32 v4, v4, v5                                   // 0000000068F0: 68080B04
	v_lshlrev_b32_e32 v4, 2, v4                                // 0000000068F4: 24080882
	v_add_u32_e32 v40, v40, v4                                 // 0000000068F8: 68500928
	v_add_u32_e32 v41, v41, v4                                 // 0000000068FC: 68520929
	v_add_u32_e32 v42, v42, v4                                 // 000000006900: 6854092A
	v_add_u32_e32 v43, v43, v4                                 // 000000006904: 6856092B
	v_add_u32_e32 v44, v44, v4                                 // 000000006908: 6858092C
	v_add_u32_e32 v45, v45, v4                                 // 00000000690C: 685A092D
	s_waitcnt lgkmcnt(0)                                       // 000000006910: BF8CC07F
	s_barrier                                                  // 000000006914: BF8A0000
	ds_read_b32 v48, v21                                       // 000000006918: D86C0000 30000015
	ds_read_b32 v49, v21 offset:64                             // 000000006920: D86C0040 31000015
	ds_read_b32 v50, v21 offset:2176                           // 000000006928: D86C0880 32000015
	ds_read_b32 v51, v21 offset:2240                           // 000000006930: D86C08C0 33000015
	ds_read_b32 v52, v21 offset:4352                           // 000000006938: D86C1100 34000015
	ds_read_b32 v53, v21 offset:4416                           // 000000006940: D86C1140 35000015
	ds_read_b32 v54, v21 offset:6528                           // 000000006948: D86C1980 36000015
	ds_read_b32 v55, v21 offset:6592                           // 000000006950: D86C19C0 37000015
	ds_read_b32 v56, v21 offset:8704                           // 000000006958: D86C2200 38000015
	ds_read_b32 v57, v21 offset:8768                           // 000000006960: D86C2240 39000015
	ds_read_b32 v58, v21 offset:10880                          // 000000006968: D86C2A80 3A000015
	ds_read_b32 v59, v21 offset:10944                          // 000000006970: D86C2AC0 3B000015
	s_waitcnt lgkmcnt(0)                                       // 000000006978: BF8CC07F
	s_mov_b32 s36, -1                                          // 00000000697C: BEA400C1
	s_mov_b32 s37, -1                                          // 000000006980: BEA500C1
	v_mov_b32_e32 v7, 0                                        // 000000006984: 7E0E0280
	s_or_b32 s9, s9, 0x40000                                   // 000000006988: 8709FF09 00040000
	s_mov_b64 exec, s[36:37]                                   // 000000006990: BEFE0124
	v_mov_b32_e32 v6, v40                                      // 000000006994: 7E0C0328
	s_mov_b64 s[60:61], 0                                      // 000000006998: BEBC0180
	v_readlane_b32 s82, v3, 0                                  // 00000000699C: D2890052 00010103
	s_and_b32 s82, s82, 0xffffff                               // 0000000069A4: 8652FF52 00FFFFFF
	s_cmp_lt_u32 s82, s66                                      // 0000000069AC: BF0A4252
	s_cselect_b32 s20, s36, s60                                // 0000000069B0: 85143C24
	v_readlane_b32 s82, v3, 1                                  // 0000000069B4: D2890052 00010303
	s_and_b32 s82, s82, 0xffffff                               // 0000000069BC: 8652FF52 00FFFFFF
	s_cmp_lt_u32 s82, s66                                      // 0000000069C4: BF0A4252
	s_cselect_b32 s21, s36, s60                                // 0000000069C8: 85153C24
	s_mov_b64 exec, s[20:21]                                   // 0000000069CC: BEFE0114
	buffer_store_dword v48, v6, s[8:11], 0 offen               // 0000000069D0: E0701000 80023006
	buffer_store_dword v50, v6, s[8:11], 0 offen offset:128    // 0000000069D8: E0701080 80023206
	s_mov_b64 exec, s[36:37]                                   // 0000000069E0: BEFE0124
	v_mov_b32_e32 v6, v41                                      // 0000000069E4: 7E0C0329
	s_mov_b64 s[60:61], 0                                      // 0000000069E8: BEBC0180
	v_readlane_b32 s82, v3, 2                                  // 0000000069EC: D2890052 00010503
	s_and_b32 s82, s82, 0xffffff                               // 0000000069F4: 8652FF52 00FFFFFF
	s_cmp_lt_u32 s82, s66                                      // 0000000069FC: BF0A4252
	s_cselect_b32 s20, s36, s60                                // 000000006A00: 85143C24
	v_readlane_b32 s82, v3, 3                                  // 000000006A04: D2890052 00010703
	s_and_b32 s82, s82, 0xffffff                               // 000000006A0C: 8652FF52 00FFFFFF
	s_cmp_lt_u32 s82, s66                                      // 000000006A14: BF0A4252
	s_cselect_b32 s21, s36, s60                                // 000000006A18: 85153C24
	s_mov_b64 exec, s[20:21]                                   // 000000006A1C: BEFE0114
	buffer_store_dword v49, v6, s[8:11], 0 offen               // 000000006A20: E0701000 80023106
	buffer_store_dword v51, v6, s[8:11], 0 offen offset:128    // 000000006A28: E0701080 80023306
	s_mov_b64 exec, s[36:37]                                   // 000000006A30: BEFE0124
	v_mov_b32_e32 v6, v42                                      // 000000006A34: 7E0C032A
	s_mov_b64 s[60:61], 0                                      // 000000006A38: BEBC0180
	v_readlane_b32 s82, v3, 4                                  // 000000006A3C: D2890052 00010903
	s_and_b32 s82, s82, 0xffffff                               // 000000006A44: 8652FF52 00FFFFFF
	s_cmp_lt_u32 s82, s66                                      // 000000006A4C: BF0A4252
	s_cselect_b32 s20, s36, s60                                // 000000006A50: 85143C24
	v_readlane_b32 s82, v3, 5                                  // 000000006A54: D2890052 00010B03
	s_and_b32 s82, s82, 0xffffff                               // 000000006A5C: 8652FF52 00FFFFFF
	s_cmp_lt_u32 s82, s66                                      // 000000006A64: BF0A4252
	s_cselect_b32 s21, s36, s60                                // 000000006A68: 85153C24
	s_mov_b64 exec, s[20:21]                                   // 000000006A6C: BEFE0114
	buffer_store_dword v52, v6, s[8:11], 0 offen               // 000000006A70: E0701000 80023406
	buffer_store_dword v54, v6, s[8:11], 0 offen offset:128    // 000000006A78: E0701080 80023606
	s_mov_b64 exec, s[36:37]                                   // 000000006A80: BEFE0124
	v_mov_b32_e32 v6, v43                                      // 000000006A84: 7E0C032B
	s_mov_b64 s[60:61], 0                                      // 000000006A88: BEBC0180
	v_readlane_b32 s82, v3, 6                                  // 000000006A8C: D2890052 00010D03
	s_and_b32 s82, s82, 0xffffff                               // 000000006A94: 8652FF52 00FFFFFF
	s_cmp_lt_u32 s82, s66                                      // 000000006A9C: BF0A4252
	s_cselect_b32 s20, s36, s60                                // 000000006AA0: 85143C24
	v_readlane_b32 s82, v3, 7                                  // 000000006AA4: D2890052 00010F03
	s_and_b32 s82, s82, 0xffffff                               // 000000006AAC: 8652FF52 00FFFFFF
	s_cmp_lt_u32 s82, s66                                      // 000000006AB4: BF0A4252
	s_cselect_b32 s21, s36, s60                                // 000000006AB8: 85153C24
	s_mov_b64 exec, s[20:21]                                   // 000000006ABC: BEFE0114
	buffer_store_dword v53, v6, s[8:11], 0 offen               // 000000006AC0: E0701000 80023506
	buffer_store_dword v55, v6, s[8:11], 0 offen offset:128    // 000000006AC8: E0701080 80023706
	s_mov_b64 exec, s[36:37]                                   // 000000006AD0: BEFE0124
	v_mov_b32_e32 v6, v44                                      // 000000006AD4: 7E0C032C
	s_mov_b64 s[60:61], 0                                      // 000000006AD8: BEBC0180
	v_readlane_b32 s82, v3, 8                                  // 000000006ADC: D2890052 00011103
	s_and_b32 s82, s82, 0xffffff                               // 000000006AE4: 8652FF52 00FFFFFF
	s_cmp_lt_u32 s82, s66                                      // 000000006AEC: BF0A4252
	s_cselect_b32 s20, s36, s60                                // 000000006AF0: 85143C24
	v_readlane_b32 s82, v3, 9                                  // 000000006AF4: D2890052 00011303
	s_and_b32 s82, s82, 0xffffff                               // 000000006AFC: 8652FF52 00FFFFFF
	s_cmp_lt_u32 s82, s66                                      // 000000006B04: BF0A4252
	s_cselect_b32 s21, s36, s60                                // 000000006B08: 85153C24
	s_mov_b64 exec, s[20:21]                                   // 000000006B0C: BEFE0114
	buffer_store_dword v56, v6, s[8:11], 0 offen               // 000000006B10: E0701000 80023806
	buffer_store_dword v58, v6, s[8:11], 0 offen offset:128    // 000000006B18: E0701080 80023A06
	s_mov_b64 exec, s[36:37]                                   // 000000006B20: BEFE0124
	v_mov_b32_e32 v6, v45                                      // 000000006B24: 7E0C032D
	s_mov_b64 s[60:61], 0                                      // 000000006B28: BEBC0180
	v_readlane_b32 s82, v3, 10                                 // 000000006B2C: D2890052 00011503
	s_and_b32 s82, s82, 0xffffff                               // 000000006B34: 8652FF52 00FFFFFF
	s_cmp_lt_u32 s82, s66                                      // 000000006B3C: BF0A4252
	s_cselect_b32 s20, s36, s60                                // 000000006B40: 85143C24
	v_readlane_b32 s82, v3, 11                                 // 000000006B44: D2890052 00011703
	s_and_b32 s82, s82, 0xffffff                               // 000000006B4C: 8652FF52 00FFFFFF
	s_cmp_lt_u32 s82, s66                                      // 000000006B54: BF0A4252
	s_cselect_b32 s21, s36, s60                                // 000000006B58: 85153C24
	s_mov_b64 exec, s[20:21]                                   // 000000006B5C: BEFE0114
	buffer_store_dword v57, v6, s[8:11], 0 offen               // 000000006B60: E0701000 80023906
	buffer_store_dword v59, v6, s[8:11], 0 offen offset:128    // 000000006B68: E0701080 80023B06
	s_mov_b64 exec, s[36:37]                                   // 000000006B70: BEFE0124
	s_branch label_137F                                        // 000000006B74: BF82031E

0000000000006b78 <label_1061>:
	ds_write_b64 v20, v[48:49]                                 // 000000006B78: D89A0000 00003014
	ds_write_b64 v20, v[52:53] offset:4352                     // 000000006B80: D89A1100 00003414
	ds_write_b64 v20, v[56:57] offset:8704                     // 000000006B88: D89A2200 00003814
	ds_write_b64 v20, v[60:61] offset:2176                     // 000000006B90: D89A0880 00003C14
	ds_write_b64 v20, v[64:65] offset:6528                     // 000000006B98: D89A1980 00004014
	ds_write_b64 v20, v[68:69] offset:10880                    // 000000006BA0: D89A2A80 00004414
	v_lshrrev_b32_e32 v4, 5, v0                                // 000000006BA8: 20080085
	v_xor_b32_e32 v5, 1, v4                                    // 000000006BAC: 2A0A0881
	s_mul_i32 s60, s65, 2                                      // 000000006BB0: 923C8241
	s_cmp_eq_u32 s88, 0                                        // 000000006BB4: BF068058
	s_cselect_b32 s61, 1, 4                                    // 000000006BB8: 853D8481
	s_mul_i32 s60, s61, s60                                    // 000000006BBC: 923C3C3D
	v_readlane_b32 s82, v3, 0                                  // 000000006BC0: D2890052 00010103
	s_lshr_b32 s61, s82, 24                                    // 000000006BC8: 8F3D9852
	s_and_b32 s82, s82, 0xffffff                               // 000000006BCC: 8652FF52 00FFFFFF
	s_mul_i32 s82, s82, s71                                    // 000000006BD4: 92524752
	s_mul_i32 s61, s60, s61                                    // 000000006BD8: 923D3D3C
	s_add_u32 s82, s82, s61                                    // 000000006BDC: 80523D52
	v_mul_lo_u32 v6, v5, s82                                   // 000000006BE0: D2850006 0000A505
	v_readlane_b32 s82, v3, 1                                  // 000000006BE8: D2890052 00010303
	s_lshr_b32 s61, s82, 24                                    // 000000006BF0: 8F3D9852
	s_and_b32 s82, s82, 0xffffff                               // 000000006BF4: 8652FF52 00FFFFFF
	s_mul_i32 s82, s82, s71                                    // 000000006BFC: 92524752
	s_mul_i32 s61, s60, s61                                    // 000000006C00: 923D3D3C
	s_add_u32 s82, s82, s61                                    // 000000006C04: 80523D52
	v_mul_lo_u32 v7, v4, s82                                   // 000000006C08: D2850007 0000A504
	v_add_u32_e32 v40, v6, v7                                  // 000000006C10: 68500F06
	v_readlane_b32 s82, v3, 2                                  // 000000006C14: D2890052 00010503
	s_lshr_b32 s61, s82, 24                                    // 000000006C1C: 8F3D9852
	s_and_b32 s82, s82, 0xffffff                               // 000000006C20: 8652FF52 00FFFFFF
	s_mul_i32 s82, s82, s71                                    // 000000006C28: 92524752
	s_mul_i32 s61, s60, s61                                    // 000000006C2C: 923D3D3C
	s_add_u32 s82, s82, s61                                    // 000000006C30: 80523D52
	v_mul_lo_u32 v6, v5, s82                                   // 000000006C34: D2850006 0000A505
	v_readlane_b32 s82, v3, 3                                  // 000000006C3C: D2890052 00010703
	s_lshr_b32 s61, s82, 24                                    // 000000006C44: 8F3D9852
	s_and_b32 s82, s82, 0xffffff                               // 000000006C48: 8652FF52 00FFFFFF
	s_mul_i32 s82, s82, s71                                    // 000000006C50: 92524752
	s_mul_i32 s61, s60, s61                                    // 000000006C54: 923D3D3C
	s_add_u32 s82, s82, s61                                    // 000000006C58: 80523D52
	v_mul_lo_u32 v7, v4, s82                                   // 000000006C5C: D2850007 0000A504
	v_add_u32_e32 v41, v6, v7                                  // 000000006C64: 68520F06
	v_readlane_b32 s82, v3, 4                                  // 000000006C68: D2890052 00010903
	s_lshr_b32 s61, s82, 24                                    // 000000006C70: 8F3D9852
	s_and_b32 s82, s82, 0xffffff                               // 000000006C74: 8652FF52 00FFFFFF
	s_mul_i32 s82, s82, s71                                    // 000000006C7C: 92524752
	s_mul_i32 s61, s60, s61                                    // 000000006C80: 923D3D3C
	s_add_u32 s82, s82, s61                                    // 000000006C84: 80523D52
	v_mul_lo_u32 v6, v5, s82                                   // 000000006C88: D2850006 0000A505
	v_readlane_b32 s82, v3, 5                                  // 000000006C90: D2890052 00010B03
	s_lshr_b32 s61, s82, 24                                    // 000000006C98: 8F3D9852
	s_and_b32 s82, s82, 0xffffff                               // 000000006C9C: 8652FF52 00FFFFFF
	s_mul_i32 s82, s82, s71                                    // 000000006CA4: 92524752
	s_mul_i32 s61, s60, s61                                    // 000000006CA8: 923D3D3C
	s_add_u32 s82, s82, s61                                    // 000000006CAC: 80523D52
	v_mul_lo_u32 v7, v4, s82                                   // 000000006CB0: D2850007 0000A504
	v_add_u32_e32 v42, v6, v7                                  // 000000006CB8: 68540F06
	v_readlane_b32 s82, v3, 6                                  // 000000006CBC: D2890052 00010D03
	s_lshr_b32 s61, s82, 24                                    // 000000006CC4: 8F3D9852
	s_and_b32 s82, s82, 0xffffff                               // 000000006CC8: 8652FF52 00FFFFFF
	s_mul_i32 s82, s82, s71                                    // 000000006CD0: 92524752
	s_mul_i32 s61, s60, s61                                    // 000000006CD4: 923D3D3C
	s_add_u32 s82, s82, s61                                    // 000000006CD8: 80523D52
	v_mul_lo_u32 v6, v5, s82                                   // 000000006CDC: D2850006 0000A505
	v_readlane_b32 s82, v3, 7                                  // 000000006CE4: D2890052 00010F03
	s_lshr_b32 s61, s82, 24                                    // 000000006CEC: 8F3D9852
	s_and_b32 s82, s82, 0xffffff                               // 000000006CF0: 8652FF52 00FFFFFF
	s_mul_i32 s82, s82, s71                                    // 000000006CF8: 92524752
	s_mul_i32 s61, s60, s61                                    // 000000006CFC: 923D3D3C
	s_add_u32 s82, s82, s61                                    // 000000006D00: 80523D52
	v_mul_lo_u32 v7, v4, s82                                   // 000000006D04: D2850007 0000A504
	v_add_u32_e32 v43, v6, v7                                  // 000000006D0C: 68560F06
	v_readlane_b32 s82, v3, 8                                  // 000000006D10: D2890052 00011103
	s_lshr_b32 s61, s82, 24                                    // 000000006D18: 8F3D9852
	s_and_b32 s82, s82, 0xffffff                               // 000000006D1C: 8652FF52 00FFFFFF
	s_mul_i32 s82, s82, s71                                    // 000000006D24: 92524752
	s_mul_i32 s61, s60, s61                                    // 000000006D28: 923D3D3C
	s_add_u32 s82, s82, s61                                    // 000000006D2C: 80523D52
	v_mul_lo_u32 v6, v5, s82                                   // 000000006D30: D2850006 0000A505
	v_readlane_b32 s82, v3, 9                                  // 000000006D38: D2890052 00011303
	s_lshr_b32 s61, s82, 24                                    // 000000006D40: 8F3D9852
	s_and_b32 s82, s82, 0xffffff                               // 000000006D44: 8652FF52 00FFFFFF
	s_mul_i32 s82, s82, s71                                    // 000000006D4C: 92524752
	s_mul_i32 s61, s60, s61                                    // 000000006D50: 923D3D3C
	s_add_u32 s82, s82, s61                                    // 000000006D54: 80523D52
	v_mul_lo_u32 v7, v4, s82                                   // 000000006D58: D2850007 0000A504
	v_add_u32_e32 v44, v6, v7                                  // 000000006D60: 68580F06
	v_readlane_b32 s82, v3, 10                                 // 000000006D64: D2890052 00011503
	s_lshr_b32 s61, s82, 24                                    // 000000006D6C: 8F3D9852
	s_and_b32 s82, s82, 0xffffff                               // 000000006D70: 8652FF52 00FFFFFF
	s_mul_i32 s82, s82, s71                                    // 000000006D78: 92524752
	s_mul_i32 s61, s60, s61                                    // 000000006D7C: 923D3D3C
	s_add_u32 s82, s82, s61                                    // 000000006D80: 80523D52
	v_mul_lo_u32 v6, v5, s82                                   // 000000006D84: D2850006 0000A505
	v_readlane_b32 s82, v3, 11                                 // 000000006D8C: D2890052 00011703
	s_lshr_b32 s61, s82, 24                                    // 000000006D94: 8F3D9852
	s_and_b32 s82, s82, 0xffffff                               // 000000006D98: 8652FF52 00FFFFFF
	s_mul_i32 s82, s82, s71                                    // 000000006DA0: 92524752
	s_mul_i32 s61, s60, s61                                    // 000000006DA4: 923D3D3C
	s_add_u32 s82, s82, s61                                    // 000000006DA8: 80523D52
	v_mul_lo_u32 v7, v4, s82                                   // 000000006DAC: D2850007 0000A504
	v_add_u32_e32 v45, v6, v7                                  // 000000006DB4: 685A0F06
	v_and_b32_e32 v4, 31, v0                                   // 000000006DB8: 2608009F
	v_lshrrev_b32_e32 v4, 1, v4                                // 000000006DBC: 20080881
	s_cmp_eq_u32 s88, 0                                        // 000000006DC0: BF068058
	s_cselect_b32 s61, 2, 4                                    // 000000006DC4: 853D8482
	v_mul_lo_u32 v4, v4, s61                                   // 000000006DC8: D2850004 00007B04
	v_and_b32_e64 v5, v0, 1                                    // 000000006DD0: D1130005 00010300
	v_add_u32_e32 v4, v4, v5                                   // 000000006DD8: 68080B04
	v_lshlrev_b32_e32 v4, 2, v4                                // 000000006DDC: 24080882
	v_add_u32_e32 v40, v40, v4                                 // 000000006DE0: 68500928
	v_add_u32_e32 v41, v41, v4                                 // 000000006DE4: 68520929
	v_add_u32_e32 v42, v42, v4                                 // 000000006DE8: 6854092A
	v_add_u32_e32 v43, v43, v4                                 // 000000006DEC: 6856092B
	v_add_u32_e32 v44, v44, v4                                 // 000000006DF0: 6858092C
	v_add_u32_e32 v45, v45, v4                                 // 000000006DF4: 685A092D
	s_waitcnt lgkmcnt(0)                                       // 000000006DF8: BF8CC07F
	s_barrier                                                  // 000000006DFC: BF8A0000
	ds_read_b32 v48, v21                                       // 000000006E00: D86C0000 30000015
	ds_read_b32 v49, v21 offset:64                             // 000000006E08: D86C0040 31000015
	ds_read_b32 v52, v21 offset:2176                           // 000000006E10: D86C0880 34000015
	ds_read_b32 v53, v21 offset:2240                           // 000000006E18: D86C08C0 35000015
	ds_read_b32 v56, v21 offset:4352                           // 000000006E20: D86C1100 38000015
	ds_read_b32 v57, v21 offset:4416                           // 000000006E28: D86C1140 39000015
	ds_read_b32 v60, v21 offset:6528                           // 000000006E30: D86C1980 3C000015
	ds_read_b32 v61, v21 offset:6592                           // 000000006E38: D86C19C0 3D000015
	ds_read_b32 v64, v21 offset:8704                           // 000000006E40: D86C2200 40000015
	ds_read_b32 v65, v21 offset:8768                           // 000000006E48: D86C2240 41000015
	ds_read_b32 v68, v21 offset:10880                          // 000000006E50: D86C2A80 44000015
	ds_read_b32 v69, v21 offset:10944                          // 000000006E58: D86C2AC0 45000015
	s_waitcnt lgkmcnt(0)                                       // 000000006E60: BF8CC07F
	s_mov_b32 s36, -1                                          // 000000006E64: BEA400C1
	s_mov_b32 s37, -1                                          // 000000006E68: BEA500C1
	v_mov_b32_e32 v7, 0                                        // 000000006E6C: 7E0E0280
	s_mov_b64 exec, s[36:37]                                   // 000000006E70: BEFE0124
	v_mov_b32_e32 v6, v40                                      // 000000006E74: 7E0C0328
	s_mov_b64 s[60:61], 0                                      // 000000006E78: BEBC0180
	v_readlane_b32 s82, v3, 0                                  // 000000006E7C: D2890052 00010103
	s_and_b32 s82, s82, 0xffffff                               // 000000006E84: 8652FF52 00FFFFFF
	s_cmp_lt_u32 s82, s66                                      // 000000006E8C: BF0A4252
	s_cselect_b32 s20, s36, s60                                // 000000006E90: 85143C24
	v_readlane_b32 s82, v3, 1                                  // 000000006E94: D2890052 00010303
	s_and_b32 s82, s82, 0xffffff                               // 000000006E9C: 8652FF52 00FFFFFF
	s_cmp_lt_u32 s82, s66                                      // 000000006EA4: BF0A4252
	s_cselect_b32 s21, s36, s60                                // 000000006EA8: 85153C24
	s_mov_b64 exec, s[20:21]                                   // 000000006EAC: BEFE0114
	global_atomic_add_f32 v6, v48, s[8:9]                      // 000000006EB0: DD348000 00083006
	global_atomic_add_f32 v6, v52, s[8:9] offset:256           // 000000006EB8: DD348100 00083406
	s_mov_b64 exec, s[36:37]                                   // 000000006EC0: BEFE0124
	v_mov_b32_e32 v6, v41                                      // 000000006EC4: 7E0C0329
	s_mov_b64 s[60:61], 0                                      // 000000006EC8: BEBC0180
	v_readlane_b32 s82, v3, 2                                  // 000000006ECC: D2890052 00010503
	s_and_b32 s82, s82, 0xffffff                               // 000000006ED4: 8652FF52 00FFFFFF
	s_cmp_lt_u32 s82, s66                                      // 000000006EDC: BF0A4252
	s_cselect_b32 s20, s36, s60                                // 000000006EE0: 85143C24
	v_readlane_b32 s82, v3, 3                                  // 000000006EE4: D2890052 00010703
	s_and_b32 s82, s82, 0xffffff                               // 000000006EEC: 8652FF52 00FFFFFF
	s_cmp_lt_u32 s82, s66                                      // 000000006EF4: BF0A4252
	s_cselect_b32 s21, s36, s60                                // 000000006EF8: 85153C24
	s_mov_b64 exec, s[20:21]                                   // 000000006EFC: BEFE0114
	global_atomic_add_f32 v6, v49, s[8:9]                      // 000000006F00: DD348000 00083106
	global_atomic_add_f32 v6, v53, s[8:9] offset:256           // 000000006F08: DD348100 00083506
	s_mov_b64 exec, s[36:37]                                   // 000000006F10: BEFE0124
	v_mov_b32_e32 v6, v42                                      // 000000006F14: 7E0C032A
	s_mov_b64 s[60:61], 0                                      // 000000006F18: BEBC0180
	v_readlane_b32 s82, v3, 4                                  // 000000006F1C: D2890052 00010903
	s_and_b32 s82, s82, 0xffffff                               // 000000006F24: 8652FF52 00FFFFFF
	s_cmp_lt_u32 s82, s66                                      // 000000006F2C: BF0A4252
	s_cselect_b32 s20, s36, s60                                // 000000006F30: 85143C24
	v_readlane_b32 s82, v3, 5                                  // 000000006F34: D2890052 00010B03
	s_and_b32 s82, s82, 0xffffff                               // 000000006F3C: 8652FF52 00FFFFFF
	s_cmp_lt_u32 s82, s66                                      // 000000006F44: BF0A4252
	s_cselect_b32 s21, s36, s60                                // 000000006F48: 85153C24
	s_mov_b64 exec, s[20:21]                                   // 000000006F4C: BEFE0114
	global_atomic_add_f32 v6, v56, s[8:9]                      // 000000006F50: DD348000 00083806
	global_atomic_add_f32 v6, v60, s[8:9] offset:256           // 000000006F58: DD348100 00083C06
	s_mov_b64 exec, s[36:37]                                   // 000000006F60: BEFE0124
	v_mov_b32_e32 v6, v43                                      // 000000006F64: 7E0C032B
	s_mov_b64 s[60:61], 0                                      // 000000006F68: BEBC0180
	v_readlane_b32 s82, v3, 6                                  // 000000006F6C: D2890052 00010D03
	s_and_b32 s82, s82, 0xffffff                               // 000000006F74: 8652FF52 00FFFFFF
	s_cmp_lt_u32 s82, s66                                      // 000000006F7C: BF0A4252
	s_cselect_b32 s20, s36, s60                                // 000000006F80: 85143C24
	v_readlane_b32 s82, v3, 7                                  // 000000006F84: D2890052 00010F03
	s_and_b32 s82, s82, 0xffffff                               // 000000006F8C: 8652FF52 00FFFFFF
	s_cmp_lt_u32 s82, s66                                      // 000000006F94: BF0A4252
	s_cselect_b32 s21, s36, s60                                // 000000006F98: 85153C24
	s_mov_b64 exec, s[20:21]                                   // 000000006F9C: BEFE0114
	global_atomic_add_f32 v6, v57, s[8:9]                      // 000000006FA0: DD348000 00083906
	global_atomic_add_f32 v6, v61, s[8:9] offset:256           // 000000006FA8: DD348100 00083D06
	s_mov_b64 exec, s[36:37]                                   // 000000006FB0: BEFE0124
	v_mov_b32_e32 v6, v44                                      // 000000006FB4: 7E0C032C
	s_mov_b64 s[60:61], 0                                      // 000000006FB8: BEBC0180
	v_readlane_b32 s82, v3, 8                                  // 000000006FBC: D2890052 00011103
	s_and_b32 s82, s82, 0xffffff                               // 000000006FC4: 8652FF52 00FFFFFF
	s_cmp_lt_u32 s82, s66                                      // 000000006FCC: BF0A4252
	s_cselect_b32 s20, s36, s60                                // 000000006FD0: 85143C24
	v_readlane_b32 s82, v3, 9                                  // 000000006FD4: D2890052 00011303
	s_and_b32 s82, s82, 0xffffff                               // 000000006FDC: 8652FF52 00FFFFFF
	s_cmp_lt_u32 s82, s66                                      // 000000006FE4: BF0A4252
	s_cselect_b32 s21, s36, s60                                // 000000006FE8: 85153C24
	s_mov_b64 exec, s[20:21]                                   // 000000006FEC: BEFE0114
	global_atomic_add_f32 v6, v64, s[8:9]                      // 000000006FF0: DD348000 00084006
	global_atomic_add_f32 v6, v68, s[8:9] offset:256           // 000000006FF8: DD348100 00084406
	s_mov_b64 exec, s[36:37]                                   // 000000007000: BEFE0124
	v_mov_b32_e32 v6, v45                                      // 000000007004: 7E0C032D
	s_mov_b64 s[60:61], 0                                      // 000000007008: BEBC0180
	v_readlane_b32 s82, v3, 10                                 // 00000000700C: D2890052 00011503
	s_and_b32 s82, s82, 0xffffff                               // 000000007014: 8652FF52 00FFFFFF
	s_cmp_lt_u32 s82, s66                                      // 00000000701C: BF0A4252
	s_cselect_b32 s20, s36, s60                                // 000000007020: 85143C24
	v_readlane_b32 s82, v3, 11                                 // 000000007024: D2890052 00011703
	s_and_b32 s82, s82, 0xffffff                               // 00000000702C: 8652FF52 00FFFFFF
	s_cmp_lt_u32 s82, s66                                      // 000000007034: BF0A4252
	s_cselect_b32 s21, s36, s60                                // 000000007038: 85153C24
	s_mov_b64 exec, s[20:21]                                   // 00000000703C: BEFE0114
	global_atomic_add_f32 v6, v65, s[8:9]                      // 000000007040: DD348000 00084106
	global_atomic_add_f32 v6, v69, s[8:9] offset:256           // 000000007048: DD348100 00084506
	s_mov_b64 exec, s[36:37]                                   // 000000007050: BEFE0124
	ds_write_b64 v20, v[50:51]                                 // 000000007054: D89A0000 00003214
	ds_write_b64 v20, v[54:55] offset:4352                     // 00000000705C: D89A1100 00003614
	ds_write_b64 v20, v[58:59] offset:8704                     // 000000007064: D89A2200 00003A14
	ds_write_b64 v20, v[62:63] offset:2176                     // 00000000706C: D89A0880 00003E14
	ds_write_b64 v20, v[66:67] offset:6528                     // 000000007074: D89A1980 00004214
	ds_write_b64 v20, v[70:71] offset:10880                    // 00000000707C: D89A2A80 00004614
	s_waitcnt lgkmcnt(0)                                       // 000000007084: BF8CC07F
	s_barrier                                                  // 000000007088: BF8A0000
	ds_read_b32 v50, v21                                       // 00000000708C: D86C0000 32000015
	ds_read_b32 v51, v21 offset:64                             // 000000007094: D86C0040 33000015
	ds_read_b32 v54, v21 offset:2176                           // 00000000709C: D86C0880 36000015
	ds_read_b32 v55, v21 offset:2240                           // 0000000070A4: D86C08C0 37000015
	ds_read_b32 v58, v21 offset:4352                           // 0000000070AC: D86C1100 3A000015
	ds_read_b32 v59, v21 offset:4416                           // 0000000070B4: D86C1140 3B000015
	ds_read_b32 v62, v21 offset:6528                           // 0000000070BC: D86C1980 3E000015
	ds_read_b32 v63, v21 offset:6592                           // 0000000070C4: D86C19C0 3F000015
	ds_read_b32 v66, v21 offset:8704                           // 0000000070CC: D86C2200 42000015
	ds_read_b32 v67, v21 offset:8768                           // 0000000070D4: D86C2240 43000015
	ds_read_b32 v70, v21 offset:10880                          // 0000000070DC: D86C2A80 46000015
	ds_read_b32 v71, v21 offset:10944                          // 0000000070E4: D86C2AC0 47000015
	s_waitcnt lgkmcnt(0)                                       // 0000000070EC: BF8CC07F
	v_mov_b32_e32 v7, 0                                        // 0000000070F0: 7E0E0280
	s_mov_b64 exec, s[36:37]                                   // 0000000070F4: BEFE0124
	v_mov_b32_e32 v6, v40                                      // 0000000070F8: 7E0C0328
	s_mov_b64 s[60:61], 0                                      // 0000000070FC: BEBC0180
	v_readlane_b32 s82, v3, 0                                  // 000000007100: D2890052 00010103
	s_and_b32 s82, s82, 0xffffff                               // 000000007108: 8652FF52 00FFFFFF
	s_cmp_lt_u32 s82, s66                                      // 000000007110: BF0A4252
	s_cselect_b32 s20, s36, s60                                // 000000007114: 85143C24
	v_readlane_b32 s82, v3, 1                                  // 000000007118: D2890052 00010303
	s_and_b32 s82, s82, 0xffffff                               // 000000007120: 8652FF52 00FFFFFF
	s_cmp_lt_u32 s82, s66                                      // 000000007128: BF0A4252
	s_cselect_b32 s21, s36, s60                                // 00000000712C: 85153C24
	s_mov_b64 exec, s[20:21]                                   // 000000007130: BEFE0114
	global_atomic_add_f32 v6, v50, s[8:9] offset:8             // 000000007134: DD348008 00083206
	global_atomic_add_f32 v6, v54, s[8:9] offset:264           // 00000000713C: DD348108 00083606
	s_mov_b64 exec, s[36:37]                                   // 000000007144: BEFE0124
	v_mov_b32_e32 v6, v41                                      // 000000007148: 7E0C0329
	s_mov_b64 s[60:61], 0                                      // 00000000714C: BEBC0180
	v_readlane_b32 s82, v3, 2                                  // 000000007150: D2890052 00010503
	s_and_b32 s82, s82, 0xffffff                               // 000000007158: 8652FF52 00FFFFFF
	s_cmp_lt_u32 s82, s66                                      // 000000007160: BF0A4252
	s_cselect_b32 s20, s36, s60                                // 000000007164: 85143C24
	v_readlane_b32 s82, v3, 3                                  // 000000007168: D2890052 00010703
	s_and_b32 s82, s82, 0xffffff                               // 000000007170: 8652FF52 00FFFFFF
	s_cmp_lt_u32 s82, s66                                      // 000000007178: BF0A4252
	s_cselect_b32 s21, s36, s60                                // 00000000717C: 85153C24
	s_mov_b64 exec, s[20:21]                                   // 000000007180: BEFE0114
	global_atomic_add_f32 v6, v51, s[8:9] offset:8             // 000000007184: DD348008 00083306
	global_atomic_add_f32 v6, v55, s[8:9] offset:264           // 00000000718C: DD348108 00083706
	s_mov_b64 exec, s[36:37]                                   // 000000007194: BEFE0124
	v_mov_b32_e32 v6, v42                                      // 000000007198: 7E0C032A
	s_mov_b64 s[60:61], 0                                      // 00000000719C: BEBC0180
	v_readlane_b32 s82, v3, 4                                  // 0000000071A0: D2890052 00010903
	s_and_b32 s82, s82, 0xffffff                               // 0000000071A8: 8652FF52 00FFFFFF
	s_cmp_lt_u32 s82, s66                                      // 0000000071B0: BF0A4252
	s_cselect_b32 s20, s36, s60                                // 0000000071B4: 85143C24
	v_readlane_b32 s82, v3, 5                                  // 0000000071B8: D2890052 00010B03
	s_and_b32 s82, s82, 0xffffff                               // 0000000071C0: 8652FF52 00FFFFFF
	s_cmp_lt_u32 s82, s66                                      // 0000000071C8: BF0A4252
	s_cselect_b32 s21, s36, s60                                // 0000000071CC: 85153C24
	s_mov_b64 exec, s[20:21]                                   // 0000000071D0: BEFE0114
	global_atomic_add_f32 v6, v58, s[8:9] offset:8             // 0000000071D4: DD348008 00083A06
	global_atomic_add_f32 v6, v62, s[8:9] offset:264           // 0000000071DC: DD348108 00083E06
	s_mov_b64 exec, s[36:37]                                   // 0000000071E4: BEFE0124
	v_mov_b32_e32 v6, v43                                      // 0000000071E8: 7E0C032B
	s_mov_b64 s[60:61], 0                                      // 0000000071EC: BEBC0180
	v_readlane_b32 s82, v3, 6                                  // 0000000071F0: D2890052 00010D03
	s_and_b32 s82, s82, 0xffffff                               // 0000000071F8: 8652FF52 00FFFFFF
	s_cmp_lt_u32 s82, s66                                      // 000000007200: BF0A4252
	s_cselect_b32 s20, s36, s60                                // 000000007204: 85143C24
	v_readlane_b32 s82, v3, 7                                  // 000000007208: D2890052 00010F03
	s_and_b32 s82, s82, 0xffffff                               // 000000007210: 8652FF52 00FFFFFF
	s_cmp_lt_u32 s82, s66                                      // 000000007218: BF0A4252
	s_cselect_b32 s21, s36, s60                                // 00000000721C: 85153C24
	s_mov_b64 exec, s[20:21]                                   // 000000007220: BEFE0114
	global_atomic_add_f32 v6, v59, s[8:9] offset:8             // 000000007224: DD348008 00083B06
	global_atomic_add_f32 v6, v63, s[8:9] offset:264           // 00000000722C: DD348108 00083F06
	s_mov_b64 exec, s[36:37]                                   // 000000007234: BEFE0124
	v_mov_b32_e32 v6, v44                                      // 000000007238: 7E0C032C
	s_mov_b64 s[60:61], 0                                      // 00000000723C: BEBC0180
	v_readlane_b32 s82, v3, 8                                  // 000000007240: D2890052 00011103
	s_and_b32 s82, s82, 0xffffff                               // 000000007248: 8652FF52 00FFFFFF
	s_cmp_lt_u32 s82, s66                                      // 000000007250: BF0A4252
	s_cselect_b32 s20, s36, s60                                // 000000007254: 85143C24
	v_readlane_b32 s82, v3, 9                                  // 000000007258: D2890052 00011303
	s_and_b32 s82, s82, 0xffffff                               // 000000007260: 8652FF52 00FFFFFF
	s_cmp_lt_u32 s82, s66                                      // 000000007268: BF0A4252
	s_cselect_b32 s21, s36, s60                                // 00000000726C: 85153C24
	s_mov_b64 exec, s[20:21]                                   // 000000007270: BEFE0114
	global_atomic_add_f32 v6, v66, s[8:9] offset:8             // 000000007274: DD348008 00084206
	global_atomic_add_f32 v6, v70, s[8:9] offset:264           // 00000000727C: DD348108 00084606
	s_mov_b64 exec, s[36:37]                                   // 000000007284: BEFE0124
	v_mov_b32_e32 v6, v45                                      // 000000007288: 7E0C032D
	s_mov_b64 s[60:61], 0                                      // 00000000728C: BEBC0180
	v_readlane_b32 s82, v3, 10                                 // 000000007290: D2890052 00011503
	s_and_b32 s82, s82, 0xffffff                               // 000000007298: 8652FF52 00FFFFFF
	s_cmp_lt_u32 s82, s66                                      // 0000000072A0: BF0A4252
	s_cselect_b32 s20, s36, s60                                // 0000000072A4: 85143C24
	v_readlane_b32 s82, v3, 11                                 // 0000000072A8: D2890052 00011703
	s_and_b32 s82, s82, 0xffffff                               // 0000000072B0: 8652FF52 00FFFFFF
	s_cmp_lt_u32 s82, s66                                      // 0000000072B8: BF0A4252
	s_cselect_b32 s21, s36, s60                                // 0000000072BC: 85153C24
	s_mov_b64 exec, s[20:21]                                   // 0000000072C0: BEFE0114
	global_atomic_add_f32 v6, v67, s[8:9] offset:8             // 0000000072C4: DD348008 00084306
	global_atomic_add_f32 v6, v71, s[8:9] offset:264           // 0000000072CC: DD348108 00084706
	s_mov_b64 exec, s[36:37]                                   // 0000000072D4: BEFE0124
	ds_write_b64 v20, v[72:73]                                 // 0000000072D8: D89A0000 00004814
	ds_write_b64 v20, v[76:77] offset:4352                     // 0000000072E0: D89A1100 00004C14
	ds_write_b64 v20, v[80:81] offset:8704                     // 0000000072E8: D89A2200 00005014
	ds_write_b64 v20, v[84:85] offset:2176                     // 0000000072F0: D89A0880 00005414
	ds_write_b64 v20, v[88:89] offset:6528                     // 0000000072F8: D89A1980 00005814
	ds_write_b64 v20, v[92:93] offset:10880                    // 000000007300: D89A2A80 00005C14
	s_waitcnt lgkmcnt(0)                                       // 000000007308: BF8CC07F
	s_barrier                                                  // 00000000730C: BF8A0000
	ds_read_b32 v72, v21                                       // 000000007310: D86C0000 48000015
	ds_read_b32 v73, v21 offset:64                             // 000000007318: D86C0040 49000015
	ds_read_b32 v76, v21 offset:2176                           // 000000007320: D86C0880 4C000015
	ds_read_b32 v77, v21 offset:2240                           // 000000007328: D86C08C0 4D000015
	ds_read_b32 v80, v21 offset:4352                           // 000000007330: D86C1100 50000015
	ds_read_b32 v81, v21 offset:4416                           // 000000007338: D86C1140 51000015
	ds_read_b32 v84, v21 offset:6528                           // 000000007340: D86C1980 54000015
	ds_read_b32 v85, v21 offset:6592                           // 000000007348: D86C19C0 55000015
	ds_read_b32 v88, v21 offset:8704                           // 000000007350: D86C2200 58000015
	ds_read_b32 v89, v21 offset:8768                           // 000000007358: D86C2240 59000015
	ds_read_b32 v92, v21 offset:10880                          // 000000007360: D86C2A80 5C000015
	ds_read_b32 v93, v21 offset:10944                          // 000000007368: D86C2AC0 5D000015
	s_mul_i32 s60, s65, 4                                      // 000000007370: 923C8441
	s_add_u32 s8, s60, s8                                      // 000000007374: 8008083C
	s_addc_u32 s9, 0, s9                                       // 000000007378: 82090980
	s_waitcnt lgkmcnt(0)                                       // 00000000737C: BF8CC07F
	v_mov_b32_e32 v7, 0                                        // 000000007380: 7E0E0280
	s_mov_b64 exec, s[36:37]                                   // 000000007384: BEFE0124
	v_mov_b32_e32 v6, v40                                      // 000000007388: 7E0C0328
	s_mov_b64 s[60:61], 0                                      // 00000000738C: BEBC0180
	v_readlane_b32 s82, v3, 0                                  // 000000007390: D2890052 00010103
	s_and_b32 s82, s82, 0xffffff                               // 000000007398: 8652FF52 00FFFFFF
	s_cmp_lt_u32 s82, s66                                      // 0000000073A0: BF0A4252
	s_cselect_b32 s20, s36, s60                                // 0000000073A4: 85143C24
	v_readlane_b32 s82, v3, 1                                  // 0000000073A8: D2890052 00010303
	s_and_b32 s82, s82, 0xffffff                               // 0000000073B0: 8652FF52 00FFFFFF
	s_cmp_lt_u32 s82, s66                                      // 0000000073B8: BF0A4252
	s_cselect_b32 s21, s36, s60                                // 0000000073BC: 85153C24
	s_mov_b64 exec, s[20:21]                                   // 0000000073C0: BEFE0114
	global_atomic_add_f32 v6, v72, s[8:9]                      // 0000000073C4: DD348000 00084806
	global_atomic_add_f32 v6, v76, s[8:9] offset:256           // 0000000073CC: DD348100 00084C06
	s_mov_b64 exec, s[36:37]                                   // 0000000073D4: BEFE0124
	v_mov_b32_e32 v6, v41                                      // 0000000073D8: 7E0C0329
	s_mov_b64 s[60:61], 0                                      // 0000000073DC: BEBC0180
	v_readlane_b32 s82, v3, 2                                  // 0000000073E0: D2890052 00010503
	s_and_b32 s82, s82, 0xffffff                               // 0000000073E8: 8652FF52 00FFFFFF
	s_cmp_lt_u32 s82, s66                                      // 0000000073F0: BF0A4252
	s_cselect_b32 s20, s36, s60                                // 0000000073F4: 85143C24
	v_readlane_b32 s82, v3, 3                                  // 0000000073F8: D2890052 00010703
	s_and_b32 s82, s82, 0xffffff                               // 000000007400: 8652FF52 00FFFFFF
	s_cmp_lt_u32 s82, s66                                      // 000000007408: BF0A4252
	s_cselect_b32 s21, s36, s60                                // 00000000740C: 85153C24
	s_mov_b64 exec, s[20:21]                                   // 000000007410: BEFE0114
	global_atomic_add_f32 v6, v73, s[8:9]                      // 000000007414: DD348000 00084906
	global_atomic_add_f32 v6, v77, s[8:9] offset:256           // 00000000741C: DD348100 00084D06
	s_mov_b64 exec, s[36:37]                                   // 000000007424: BEFE0124
	v_mov_b32_e32 v6, v42                                      // 000000007428: 7E0C032A
	s_mov_b64 s[60:61], 0                                      // 00000000742C: BEBC0180
	v_readlane_b32 s82, v3, 4                                  // 000000007430: D2890052 00010903
	s_and_b32 s82, s82, 0xffffff                               // 000000007438: 8652FF52 00FFFFFF
	s_cmp_lt_u32 s82, s66                                      // 000000007440: BF0A4252
	s_cselect_b32 s20, s36, s60                                // 000000007444: 85143C24
	v_readlane_b32 s82, v3, 5                                  // 000000007448: D2890052 00010B03
	s_and_b32 s82, s82, 0xffffff                               // 000000007450: 8652FF52 00FFFFFF
	s_cmp_lt_u32 s82, s66                                      // 000000007458: BF0A4252
	s_cselect_b32 s21, s36, s60                                // 00000000745C: 85153C24
	s_mov_b64 exec, s[20:21]                                   // 000000007460: BEFE0114
	global_atomic_add_f32 v6, v80, s[8:9]                      // 000000007464: DD348000 00085006
	global_atomic_add_f32 v6, v84, s[8:9] offset:256           // 00000000746C: DD348100 00085406
	s_mov_b64 exec, s[36:37]                                   // 000000007474: BEFE0124
	v_mov_b32_e32 v6, v43                                      // 000000007478: 7E0C032B
	s_mov_b64 s[60:61], 0                                      // 00000000747C: BEBC0180
	v_readlane_b32 s82, v3, 6                                  // 000000007480: D2890052 00010D03
	s_and_b32 s82, s82, 0xffffff                               // 000000007488: 8652FF52 00FFFFFF
	s_cmp_lt_u32 s82, s66                                      // 000000007490: BF0A4252
	s_cselect_b32 s20, s36, s60                                // 000000007494: 85143C24
	v_readlane_b32 s82, v3, 7                                  // 000000007498: D2890052 00010F03
	s_and_b32 s82, s82, 0xffffff                               // 0000000074A0: 8652FF52 00FFFFFF
	s_cmp_lt_u32 s82, s66                                      // 0000000074A8: BF0A4252
	s_cselect_b32 s21, s36, s60                                // 0000000074AC: 85153C24
	s_mov_b64 exec, s[20:21]                                   // 0000000074B0: BEFE0114
	global_atomic_add_f32 v6, v81, s[8:9]                      // 0000000074B4: DD348000 00085106
	global_atomic_add_f32 v6, v85, s[8:9] offset:256           // 0000000074BC: DD348100 00085506
	s_mov_b64 exec, s[36:37]                                   // 0000000074C4: BEFE0124
	v_mov_b32_e32 v6, v44                                      // 0000000074C8: 7E0C032C
	s_mov_b64 s[60:61], 0                                      // 0000000074CC: BEBC0180
	v_readlane_b32 s82, v3, 8                                  // 0000000074D0: D2890052 00011103
	s_and_b32 s82, s82, 0xffffff                               // 0000000074D8: 8652FF52 00FFFFFF
	s_cmp_lt_u32 s82, s66                                      // 0000000074E0: BF0A4252
	s_cselect_b32 s20, s36, s60                                // 0000000074E4: 85143C24
	v_readlane_b32 s82, v3, 9                                  // 0000000074E8: D2890052 00011303
	s_and_b32 s82, s82, 0xffffff                               // 0000000074F0: 8652FF52 00FFFFFF
	s_cmp_lt_u32 s82, s66                                      // 0000000074F8: BF0A4252
	s_cselect_b32 s21, s36, s60                                // 0000000074FC: 85153C24
	s_mov_b64 exec, s[20:21]                                   // 000000007500: BEFE0114
	global_atomic_add_f32 v6, v88, s[8:9]                      // 000000007504: DD348000 00085806
	global_atomic_add_f32 v6, v92, s[8:9] offset:256           // 00000000750C: DD348100 00085C06
	s_mov_b64 exec, s[36:37]                                   // 000000007514: BEFE0124
	v_mov_b32_e32 v6, v45                                      // 000000007518: 7E0C032D
	s_mov_b64 s[60:61], 0                                      // 00000000751C: BEBC0180
	v_readlane_b32 s82, v3, 10                                 // 000000007520: D2890052 00011503
	s_and_b32 s82, s82, 0xffffff                               // 000000007528: 8652FF52 00FFFFFF
	s_cmp_lt_u32 s82, s66                                      // 000000007530: BF0A4252
	s_cselect_b32 s20, s36, s60                                // 000000007534: 85143C24
	v_readlane_b32 s82, v3, 11                                 // 000000007538: D2890052 00011703
	s_and_b32 s82, s82, 0xffffff                               // 000000007540: 8652FF52 00FFFFFF
	s_cmp_lt_u32 s82, s66                                      // 000000007548: BF0A4252
	s_cselect_b32 s21, s36, s60                                // 00000000754C: 85153C24
	s_mov_b64 exec, s[20:21]                                   // 000000007550: BEFE0114
	global_atomic_add_f32 v6, v89, s[8:9]                      // 000000007554: DD348000 00085906
	global_atomic_add_f32 v6, v93, s[8:9] offset:256           // 00000000755C: DD348100 00085D06
	s_mov_b64 exec, s[36:37]                                   // 000000007564: BEFE0124
	ds_write_b64 v20, v[74:75]                                 // 000000007568: D89A0000 00004A14
	ds_write_b64 v20, v[78:79] offset:4352                     // 000000007570: D89A1100 00004E14
	ds_write_b64 v20, v[82:83] offset:8704                     // 000000007578: D89A2200 00005214
	ds_write_b64 v20, v[86:87] offset:2176                     // 000000007580: D89A0880 00005614
	ds_write_b64 v20, v[90:91] offset:6528                     // 000000007588: D89A1980 00005A14
	ds_write_b64 v20, v[94:95] offset:10880                    // 000000007590: D89A2A80 00005E14
	s_waitcnt lgkmcnt(0)                                       // 000000007598: BF8CC07F
	s_barrier                                                  // 00000000759C: BF8A0000
	ds_read_b32 v74, v21                                       // 0000000075A0: D86C0000 4A000015
	ds_read_b32 v75, v21 offset:64                             // 0000000075A8: D86C0040 4B000015
	ds_read_b32 v78, v21 offset:2176                           // 0000000075B0: D86C0880 4E000015
	ds_read_b32 v79, v21 offset:2240                           // 0000000075B8: D86C08C0 4F000015
	ds_read_b32 v82, v21 offset:4352                           // 0000000075C0: D86C1100 52000015
	ds_read_b32 v83, v21 offset:4416                           // 0000000075C8: D86C1140 53000015
	ds_read_b32 v86, v21 offset:6528                           // 0000000075D0: D86C1980 56000015
	ds_read_b32 v87, v21 offset:6592                           // 0000000075D8: D86C19C0 57000015
	ds_read_b32 v90, v21 offset:8704                           // 0000000075E0: D86C2200 5A000015
	ds_read_b32 v91, v21 offset:8768                           // 0000000075E8: D86C2240 5B000015
	ds_read_b32 v94, v21 offset:10880                          // 0000000075F0: D86C2A80 5E000015
	ds_read_b32 v95, v21 offset:10944                          // 0000000075F8: D86C2AC0 5F000015
	s_waitcnt lgkmcnt(0)                                       // 000000007600: BF8CC07F
	v_mov_b32_e32 v7, 0                                        // 000000007604: 7E0E0280
	s_mov_b64 exec, s[36:37]                                   // 000000007608: BEFE0124
	v_mov_b32_e32 v6, v40                                      // 00000000760C: 7E0C0328
	s_mov_b64 s[60:61], 0                                      // 000000007610: BEBC0180
	v_readlane_b32 s82, v3, 0                                  // 000000007614: D2890052 00010103
	s_and_b32 s82, s82, 0xffffff                               // 00000000761C: 8652FF52 00FFFFFF
	s_cmp_lt_u32 s82, s66                                      // 000000007624: BF0A4252
	s_cselect_b32 s20, s36, s60                                // 000000007628: 85143C24
	v_readlane_b32 s82, v3, 1                                  // 00000000762C: D2890052 00010303
	s_and_b32 s82, s82, 0xffffff                               // 000000007634: 8652FF52 00FFFFFF
	s_cmp_lt_u32 s82, s66                                      // 00000000763C: BF0A4252
	s_cselect_b32 s21, s36, s60                                // 000000007640: 85153C24
	s_mov_b64 exec, s[20:21]                                   // 000000007644: BEFE0114
	global_atomic_add_f32 v6, v74, s[8:9] offset:8             // 000000007648: DD348008 00084A06
	global_atomic_add_f32 v6, v78, s[8:9] offset:264           // 000000007650: DD348108 00084E06
	s_mov_b64 exec, s[36:37]                                   // 000000007658: BEFE0124
	v_mov_b32_e32 v6, v41                                      // 00000000765C: 7E0C0329
	s_mov_b64 s[60:61], 0                                      // 000000007660: BEBC0180
	v_readlane_b32 s82, v3, 2                                  // 000000007664: D2890052 00010503
	s_and_b32 s82, s82, 0xffffff                               // 00000000766C: 8652FF52 00FFFFFF
	s_cmp_lt_u32 s82, s66                                      // 000000007674: BF0A4252
	s_cselect_b32 s20, s36, s60                                // 000000007678: 85143C24
	v_readlane_b32 s82, v3, 3                                  // 00000000767C: D2890052 00010703
	s_and_b32 s82, s82, 0xffffff                               // 000000007684: 8652FF52 00FFFFFF
	s_cmp_lt_u32 s82, s66                                      // 00000000768C: BF0A4252
	s_cselect_b32 s21, s36, s60                                // 000000007690: 85153C24
	s_mov_b64 exec, s[20:21]                                   // 000000007694: BEFE0114
	global_atomic_add_f32 v6, v75, s[8:9] offset:8             // 000000007698: DD348008 00084B06
	global_atomic_add_f32 v6, v79, s[8:9] offset:264           // 0000000076A0: DD348108 00084F06
	s_mov_b64 exec, s[36:37]                                   // 0000000076A8: BEFE0124
	v_mov_b32_e32 v6, v42                                      // 0000000076AC: 7E0C032A
	s_mov_b64 s[60:61], 0                                      // 0000000076B0: BEBC0180
	v_readlane_b32 s82, v3, 4                                  // 0000000076B4: D2890052 00010903
	s_and_b32 s82, s82, 0xffffff                               // 0000000076BC: 8652FF52 00FFFFFF
	s_cmp_lt_u32 s82, s66                                      // 0000000076C4: BF0A4252
	s_cselect_b32 s20, s36, s60                                // 0000000076C8: 85143C24
	v_readlane_b32 s82, v3, 5                                  // 0000000076CC: D2890052 00010B03
	s_and_b32 s82, s82, 0xffffff                               // 0000000076D4: 8652FF52 00FFFFFF
	s_cmp_lt_u32 s82, s66                                      // 0000000076DC: BF0A4252
	s_cselect_b32 s21, s36, s60                                // 0000000076E0: 85153C24
	s_mov_b64 exec, s[20:21]                                   // 0000000076E4: BEFE0114
	global_atomic_add_f32 v6, v82, s[8:9] offset:8             // 0000000076E8: DD348008 00085206
	global_atomic_add_f32 v6, v86, s[8:9] offset:264           // 0000000076F0: DD348108 00085606
	s_mov_b64 exec, s[36:37]                                   // 0000000076F8: BEFE0124
	v_mov_b32_e32 v6, v43                                      // 0000000076FC: 7E0C032B
	s_mov_b64 s[60:61], 0                                      // 000000007700: BEBC0180
	v_readlane_b32 s82, v3, 6                                  // 000000007704: D2890052 00010D03
	s_and_b32 s82, s82, 0xffffff                               // 00000000770C: 8652FF52 00FFFFFF
	s_cmp_lt_u32 s82, s66                                      // 000000007714: BF0A4252
	s_cselect_b32 s20, s36, s60                                // 000000007718: 85143C24
	v_readlane_b32 s82, v3, 7                                  // 00000000771C: D2890052 00010F03
	s_and_b32 s82, s82, 0xffffff                               // 000000007724: 8652FF52 00FFFFFF
	s_cmp_lt_u32 s82, s66                                      // 00000000772C: BF0A4252
	s_cselect_b32 s21, s36, s60                                // 000000007730: 85153C24
	s_mov_b64 exec, s[20:21]                                   // 000000007734: BEFE0114
	global_atomic_add_f32 v6, v83, s[8:9] offset:8             // 000000007738: DD348008 00085306
	global_atomic_add_f32 v6, v87, s[8:9] offset:264           // 000000007740: DD348108 00085706
	s_mov_b64 exec, s[36:37]                                   // 000000007748: BEFE0124
	v_mov_b32_e32 v6, v44                                      // 00000000774C: 7E0C032C
	s_mov_b64 s[60:61], 0                                      // 000000007750: BEBC0180
	v_readlane_b32 s82, v3, 8                                  // 000000007754: D2890052 00011103
	s_and_b32 s82, s82, 0xffffff                               // 00000000775C: 8652FF52 00FFFFFF
	s_cmp_lt_u32 s82, s66                                      // 000000007764: BF0A4252
	s_cselect_b32 s20, s36, s60                                // 000000007768: 85143C24
	v_readlane_b32 s82, v3, 9                                  // 00000000776C: D2890052 00011303
	s_and_b32 s82, s82, 0xffffff                               // 000000007774: 8652FF52 00FFFFFF
	s_cmp_lt_u32 s82, s66                                      // 00000000777C: BF0A4252
	s_cselect_b32 s21, s36, s60                                // 000000007780: 85153C24
	s_mov_b64 exec, s[20:21]                                   // 000000007784: BEFE0114
	global_atomic_add_f32 v6, v90, s[8:9] offset:8             // 000000007788: DD348008 00085A06
	global_atomic_add_f32 v6, v94, s[8:9] offset:264           // 000000007790: DD348108 00085E06
	s_mov_b64 exec, s[36:37]                                   // 000000007798: BEFE0124
	v_mov_b32_e32 v6, v45                                      // 00000000779C: 7E0C032D
	s_mov_b64 s[60:61], 0                                      // 0000000077A0: BEBC0180
	v_readlane_b32 s82, v3, 10                                 // 0000000077A4: D2890052 00011503
	s_and_b32 s82, s82, 0xffffff                               // 0000000077AC: 8652FF52 00FFFFFF
	s_cmp_lt_u32 s82, s66                                      // 0000000077B4: BF0A4252
	s_cselect_b32 s20, s36, s60                                // 0000000077B8: 85143C24
	v_readlane_b32 s82, v3, 11                                 // 0000000077BC: D2890052 00011703
	s_and_b32 s82, s82, 0xffffff                               // 0000000077C4: 8652FF52 00FFFFFF
	s_cmp_lt_u32 s82, s66                                      // 0000000077CC: BF0A4252
	s_cselect_b32 s21, s36, s60                                // 0000000077D0: 85153C24
	s_mov_b64 exec, s[20:21]                                   // 0000000077D4: BEFE0114
	global_atomic_add_f32 v6, v91, s[8:9] offset:8             // 0000000077D8: DD348008 00085B06
	global_atomic_add_f32 v6, v95, s[8:9] offset:264           // 0000000077E0: DD348108 00085F06
	s_mov_b64 exec, s[36:37]                                   // 0000000077E8: BEFE0124
	s_branch label_137F                                        // 0000000077EC: BF820000

00000000000077f0 <label_137F>:
	s_waitcnt vmcnt(0) expcnt(0) lgkmcnt(0)                    // 0000000077F0: BF8C0000
	s_endpgm                                                   // 0000000077F4: BF810000
